;; amdgpu-corpus repo=ROCm/rocFFT kind=compiled arch=gfx906 opt=O3
	.text
	.amdgcn_target "amdgcn-amd-amdhsa--gfx906"
	.amdhsa_code_object_version 6
	.protected	fft_rtc_back_len2016_factors_2_2_2_2_2_3_3_7_wgs_224_tpt_112_halfLds_half_op_CI_CI_unitstride_sbrr_C2R_dirReg ; -- Begin function fft_rtc_back_len2016_factors_2_2_2_2_2_3_3_7_wgs_224_tpt_112_halfLds_half_op_CI_CI_unitstride_sbrr_C2R_dirReg
	.globl	fft_rtc_back_len2016_factors_2_2_2_2_2_3_3_7_wgs_224_tpt_112_halfLds_half_op_CI_CI_unitstride_sbrr_C2R_dirReg
	.p2align	8
	.type	fft_rtc_back_len2016_factors_2_2_2_2_2_3_3_7_wgs_224_tpt_112_halfLds_half_op_CI_CI_unitstride_sbrr_C2R_dirReg,@function
fft_rtc_back_len2016_factors_2_2_2_2_2_3_3_7_wgs_224_tpt_112_halfLds_half_op_CI_CI_unitstride_sbrr_C2R_dirReg: ; @fft_rtc_back_len2016_factors_2_2_2_2_2_3_3_7_wgs_224_tpt_112_halfLds_half_op_CI_CI_unitstride_sbrr_C2R_dirReg
; %bb.0:
	s_load_dwordx4 s[8:11], s[4:5], 0x58
	s_load_dwordx4 s[12:15], s[4:5], 0x0
	;; [unrolled: 1-line block ×3, first 2 shown]
	v_mul_u32_u24_e32 v1, 0x24a, v0
	v_lshrrev_b32_e32 v11, 16, v1
	v_mov_b32_e32 v3, 0
	s_waitcnt lgkmcnt(0)
	v_cmp_lt_u64_e64 s[0:1], s[14:15], 2
	v_mov_b32_e32 v7, 0
	v_lshl_add_u32 v9, s6, 1, v11
	v_mov_b32_e32 v10, v3
	s_and_b64 vcc, exec, s[0:1]
	v_mov_b32_e32 v8, 0
	s_cbranch_vccnz .LBB0_8
; %bb.1:
	s_load_dwordx2 s[0:1], s[4:5], 0x10
	s_add_u32 s2, s18, 8
	s_addc_u32 s3, s19, 0
	s_add_u32 s6, s16, 8
	s_addc_u32 s7, s17, 0
	v_mov_b32_e32 v7, 0
	s_waitcnt lgkmcnt(0)
	s_add_u32 s20, s0, 8
	v_mov_b32_e32 v8, 0
	v_mov_b32_e32 v1, v7
	s_addc_u32 s21, s1, 0
	s_mov_b64 s[22:23], 1
	v_mov_b32_e32 v2, v8
.LBB0_2:                                ; =>This Inner Loop Header: Depth=1
	s_load_dwordx2 s[24:25], s[20:21], 0x0
                                        ; implicit-def: $vgpr5_vgpr6
	s_waitcnt lgkmcnt(0)
	v_or_b32_e32 v4, s25, v10
	v_cmp_ne_u64_e32 vcc, 0, v[3:4]
	s_and_saveexec_b64 s[0:1], vcc
	s_xor_b64 s[26:27], exec, s[0:1]
	s_cbranch_execz .LBB0_4
; %bb.3:                                ;   in Loop: Header=BB0_2 Depth=1
	v_cvt_f32_u32_e32 v4, s24
	v_cvt_f32_u32_e32 v5, s25
	s_sub_u32 s0, 0, s24
	s_subb_u32 s1, 0, s25
	v_mac_f32_e32 v4, 0x4f800000, v5
	v_rcp_f32_e32 v4, v4
	v_mul_f32_e32 v4, 0x5f7ffffc, v4
	v_mul_f32_e32 v5, 0x2f800000, v4
	v_trunc_f32_e32 v5, v5
	v_mac_f32_e32 v4, 0xcf800000, v5
	v_cvt_u32_f32_e32 v5, v5
	v_cvt_u32_f32_e32 v4, v4
	v_mul_lo_u32 v6, s0, v5
	v_mul_hi_u32 v12, s0, v4
	v_mul_lo_u32 v14, s1, v4
	v_mul_lo_u32 v13, s0, v4
	v_add_u32_e32 v6, v12, v6
	v_add_u32_e32 v6, v6, v14
	v_mul_hi_u32 v12, v4, v13
	v_mul_lo_u32 v14, v4, v6
	v_mul_hi_u32 v16, v4, v6
	v_mul_hi_u32 v15, v5, v13
	v_mul_lo_u32 v13, v5, v13
	v_mul_hi_u32 v17, v5, v6
	v_add_co_u32_e32 v12, vcc, v12, v14
	v_addc_co_u32_e32 v14, vcc, 0, v16, vcc
	v_mul_lo_u32 v6, v5, v6
	v_add_co_u32_e32 v12, vcc, v12, v13
	v_addc_co_u32_e32 v12, vcc, v14, v15, vcc
	v_addc_co_u32_e32 v13, vcc, 0, v17, vcc
	v_add_co_u32_e32 v6, vcc, v12, v6
	v_addc_co_u32_e32 v12, vcc, 0, v13, vcc
	v_add_co_u32_e32 v4, vcc, v4, v6
	v_addc_co_u32_e32 v5, vcc, v5, v12, vcc
	v_mul_lo_u32 v6, s0, v5
	v_mul_hi_u32 v12, s0, v4
	v_mul_lo_u32 v13, s1, v4
	v_mul_lo_u32 v14, s0, v4
	v_add_u32_e32 v6, v12, v6
	v_add_u32_e32 v6, v6, v13
	v_mul_lo_u32 v15, v4, v6
	v_mul_hi_u32 v16, v4, v14
	v_mul_hi_u32 v17, v4, v6
	;; [unrolled: 1-line block ×3, first 2 shown]
	v_mul_lo_u32 v14, v5, v14
	v_mul_hi_u32 v12, v5, v6
	v_add_co_u32_e32 v15, vcc, v16, v15
	v_addc_co_u32_e32 v16, vcc, 0, v17, vcc
	v_mul_lo_u32 v6, v5, v6
	v_add_co_u32_e32 v14, vcc, v15, v14
	v_addc_co_u32_e32 v13, vcc, v16, v13, vcc
	v_addc_co_u32_e32 v12, vcc, 0, v12, vcc
	v_add_co_u32_e32 v6, vcc, v13, v6
	v_addc_co_u32_e32 v12, vcc, 0, v12, vcc
	v_add_co_u32_e32 v6, vcc, v4, v6
	v_addc_co_u32_e32 v12, vcc, v5, v12, vcc
	v_mad_u64_u32 v[4:5], s[0:1], v9, v12, 0
	v_mul_hi_u32 v13, v9, v6
	v_add_co_u32_e32 v14, vcc, v13, v4
	v_addc_co_u32_e32 v15, vcc, 0, v5, vcc
	v_mad_u64_u32 v[4:5], s[0:1], v10, v6, 0
	v_mad_u64_u32 v[12:13], s[0:1], v10, v12, 0
	v_add_co_u32_e32 v4, vcc, v14, v4
	v_addc_co_u32_e32 v4, vcc, v15, v5, vcc
	v_addc_co_u32_e32 v5, vcc, 0, v13, vcc
	v_add_co_u32_e32 v12, vcc, v4, v12
	v_addc_co_u32_e32 v6, vcc, 0, v5, vcc
	v_mul_lo_u32 v13, s25, v12
	v_mul_lo_u32 v14, s24, v6
	v_mad_u64_u32 v[4:5], s[0:1], s24, v12, 0
	v_add3_u32 v5, v5, v14, v13
	v_sub_u32_e32 v13, v10, v5
	v_mov_b32_e32 v14, s25
	v_sub_co_u32_e32 v4, vcc, v9, v4
	v_subb_co_u32_e64 v13, s[0:1], v13, v14, vcc
	v_subrev_co_u32_e64 v14, s[0:1], s24, v4
	v_subbrev_co_u32_e64 v13, s[0:1], 0, v13, s[0:1]
	v_cmp_le_u32_e64 s[0:1], s25, v13
	v_cndmask_b32_e64 v15, 0, -1, s[0:1]
	v_cmp_le_u32_e64 s[0:1], s24, v14
	v_cndmask_b32_e64 v14, 0, -1, s[0:1]
	v_cmp_eq_u32_e64 s[0:1], s25, v13
	v_cndmask_b32_e64 v13, v15, v14, s[0:1]
	v_add_co_u32_e64 v14, s[0:1], 2, v12
	v_addc_co_u32_e64 v15, s[0:1], 0, v6, s[0:1]
	v_add_co_u32_e64 v16, s[0:1], 1, v12
	v_addc_co_u32_e64 v17, s[0:1], 0, v6, s[0:1]
	v_subb_co_u32_e32 v5, vcc, v10, v5, vcc
	v_cmp_ne_u32_e64 s[0:1], 0, v13
	v_cmp_le_u32_e32 vcc, s25, v5
	v_cndmask_b32_e64 v13, v17, v15, s[0:1]
	v_cndmask_b32_e64 v15, 0, -1, vcc
	v_cmp_le_u32_e32 vcc, s24, v4
	v_cndmask_b32_e64 v4, 0, -1, vcc
	v_cmp_eq_u32_e32 vcc, s25, v5
	v_cndmask_b32_e32 v4, v15, v4, vcc
	v_cmp_ne_u32_e32 vcc, 0, v4
	v_cndmask_b32_e64 v4, v16, v14, s[0:1]
	v_cndmask_b32_e32 v6, v6, v13, vcc
	v_cndmask_b32_e32 v5, v12, v4, vcc
.LBB0_4:                                ;   in Loop: Header=BB0_2 Depth=1
	s_andn2_saveexec_b64 s[0:1], s[26:27]
	s_cbranch_execz .LBB0_6
; %bb.5:                                ;   in Loop: Header=BB0_2 Depth=1
	v_cvt_f32_u32_e32 v4, s24
	s_sub_i32 s26, 0, s24
	v_rcp_iflag_f32_e32 v4, v4
	v_mul_f32_e32 v4, 0x4f7ffffe, v4
	v_cvt_u32_f32_e32 v4, v4
	v_mul_lo_u32 v5, s26, v4
	v_mul_hi_u32 v5, v4, v5
	v_add_u32_e32 v4, v4, v5
	v_mul_hi_u32 v4, v9, v4
	v_mul_lo_u32 v5, v4, s24
	v_add_u32_e32 v6, 1, v4
	v_sub_u32_e32 v5, v9, v5
	v_subrev_u32_e32 v12, s24, v5
	v_cmp_le_u32_e32 vcc, s24, v5
	v_cndmask_b32_e32 v5, v5, v12, vcc
	v_cndmask_b32_e32 v4, v4, v6, vcc
	v_add_u32_e32 v6, 1, v4
	v_cmp_le_u32_e32 vcc, s24, v5
	v_cndmask_b32_e32 v5, v4, v6, vcc
	v_mov_b32_e32 v6, v3
.LBB0_6:                                ;   in Loop: Header=BB0_2 Depth=1
	s_or_b64 exec, exec, s[0:1]
	v_mul_lo_u32 v4, v6, s24
	v_mul_lo_u32 v14, v5, s25
	v_mad_u64_u32 v[12:13], s[0:1], v5, s24, 0
	s_load_dwordx2 s[0:1], s[6:7], 0x0
	s_load_dwordx2 s[24:25], s[2:3], 0x0
	v_add3_u32 v4, v13, v14, v4
	v_sub_co_u32_e32 v9, vcc, v9, v12
	v_subb_co_u32_e32 v4, vcc, v10, v4, vcc
	s_waitcnt lgkmcnt(0)
	v_mul_lo_u32 v10, s0, v4
	v_mul_lo_u32 v12, s1, v9
	v_mad_u64_u32 v[7:8], s[0:1], s0, v9, v[7:8]
	s_add_u32 s22, s22, 1
	s_addc_u32 s23, s23, 0
	s_add_u32 s2, s2, 8
	v_mul_lo_u32 v4, s24, v4
	v_mul_lo_u32 v13, s25, v9
	v_mad_u64_u32 v[1:2], s[0:1], s24, v9, v[1:2]
	v_add3_u32 v8, v12, v8, v10
	s_addc_u32 s3, s3, 0
	v_mov_b32_e32 v9, s14
	s_add_u32 s6, s6, 8
	v_mov_b32_e32 v10, s15
	s_addc_u32 s7, s7, 0
	v_cmp_ge_u64_e32 vcc, s[22:23], v[9:10]
	s_add_u32 s20, s20, 8
	v_add3_u32 v2, v13, v2, v4
	s_addc_u32 s21, s21, 0
	s_cbranch_vccnz .LBB0_9
; %bb.7:                                ;   in Loop: Header=BB0_2 Depth=1
	v_mov_b32_e32 v10, v6
	v_mov_b32_e32 v9, v5
	s_branch .LBB0_2
.LBB0_8:
	v_mov_b32_e32 v1, v7
	v_mov_b32_e32 v5, v9
	;; [unrolled: 1-line block ×4, first 2 shown]
.LBB0_9:
	s_load_dwordx2 s[2:3], s[4:5], 0x28
	s_lshl_b64 s[6:7], s[14:15], 3
	s_add_u32 s14, s18, s6
	v_and_b32_e32 v3, 1, v11
	s_addc_u32 s15, s19, s7
	s_waitcnt lgkmcnt(0)
	v_cmp_gt_u64_e64 s[0:1], s[2:3], v[5:6]
	v_cmp_le_u64_e64 s[2:3], s[2:3], v[5:6]
	v_cmp_eq_u32_e32 vcc, 1, v3
	v_mov_b32_e32 v4, 0x7e1
                                        ; implicit-def: $vgpr3
	s_and_saveexec_b64 s[4:5], s[2:3]
	s_xor_b64 s[2:3], exec, s[4:5]
; %bb.10:
	s_mov_b32 s4, 0x2492493
	v_mul_hi_u32 v3, v0, s4
                                        ; implicit-def: $vgpr7_vgpr8
	v_mul_u32_u24_e32 v3, 0x70, v3
	v_sub_u32_e32 v3, v0, v3
                                        ; implicit-def: $vgpr0
; %bb.11:
	s_or_saveexec_b64 s[4:5], s[2:3]
	s_load_dwordx2 s[2:3], s[14:15], 0x0
	v_cndmask_b32_e32 v19, 0, v4, vcc
	v_lshlrev_b32_e32 v9, 2, v19
	s_xor_b64 exec, exec, s[4:5]
	s_cbranch_execz .LBB0_15
; %bb.12:
	s_add_u32 s6, s16, s6
	s_addc_u32 s7, s17, s7
	s_load_dwordx2 s[6:7], s[6:7], 0x0
	s_mov_b32 s14, 0x2492493
	v_mul_hi_u32 v3, v0, s14
	v_lshlrev_b64 v[7:8], 2, v[7:8]
	s_waitcnt lgkmcnt(0)
	v_mul_lo_u32 v4, s7, v5
	v_mul_lo_u32 v12, s6, v6
	v_mad_u64_u32 v[10:11], s[6:7], s6, v5, 0
	v_mul_u32_u24_e32 v3, 0x70, v3
	v_sub_u32_e32 v3, v0, v3
	v_add3_u32 v11, v11, v12, v4
	v_lshlrev_b64 v[10:11], 2, v[10:11]
	v_mov_b32_e32 v0, s9
	v_add_co_u32_e32 v4, vcc, s8, v10
	v_addc_co_u32_e32 v0, vcc, v0, v11, vcc
	v_add_co_u32_e32 v4, vcc, v4, v7
	v_addc_co_u32_e32 v0, vcc, v0, v8, vcc
	v_lshlrev_b32_e32 v12, 2, v3
	v_add_co_u32_e32 v7, vcc, v4, v12
	v_addc_co_u32_e32 v8, vcc, 0, v0, vcc
	s_movk_i32 s6, 0x1000
	v_add_co_u32_e32 v10, vcc, s6, v7
	global_load_dword v13, v[7:8], off offset:1344
	global_load_dword v14, v[7:8], off offset:1792
	global_load_dword v15, v[7:8], off offset:2240
	global_load_dword v16, v[7:8], off offset:2688
	global_load_dword v17, v[7:8], off offset:3136
	v_addc_co_u32_e32 v11, vcc, 0, v8, vcc
	global_load_dword v18, v[7:8], off offset:3584
	global_load_dword v20, v[7:8], off offset:4032
	;; [unrolled: 1-line block ×8, first 2 shown]
	global_load_dword v27, v[7:8], off
	global_load_dword v28, v[7:8], off offset:896
	global_load_dword v29, v[7:8], off offset:448
	v_or_b32_e32 v7, 0x1c00, v12
	v_add_co_u32_e32 v7, vcc, v4, v7
	v_addc_co_u32_e32 v8, vcc, 0, v0, vcc
	global_load_dword v30, v[7:8], off
	global_load_dword v31, v[10:11], off offset:3520
	s_movk_i32 s6, 0x6f
	v_add3_u32 v7, 0, v9, v12
	v_add_u32_e32 v8, 0x200, v7
	v_cmp_eq_u32_e32 vcc, s6, v3
	v_add_u32_e32 v10, 0x600, v7
	v_add_u32_e32 v11, 0xa00, v7
	;; [unrolled: 1-line block ×7, first 2 shown]
	s_waitcnt vmcnt(3)
	ds_write2_b32 v8, v28, v13 offset0:96 offset1:208
	ds_write2_b32 v10, v14, v15 offset0:64 offset1:176
	ds_write2_b32 v11, v16, v17 offset0:32 offset1:144
	ds_write2_b32 v12, v18, v20 offset0:128 offset1:240
	s_waitcnt vmcnt(2)
	ds_write2_b32 v7, v27, v29 offset1:112
	ds_write2_b32 v32, v21, v22 offset0:96 offset1:208
	ds_write2_b32 v33, v23, v24 offset0:64 offset1:176
	;; [unrolled: 1-line block ×3, first 2 shown]
	s_waitcnt vmcnt(0)
	ds_write2_b32 v35, v30, v31 offset1:112
	s_and_saveexec_b64 s[6:7], vcc
	s_cbranch_execz .LBB0_14
; %bb.13:
	v_add_co_u32_e32 v3, vcc, 0x1000, v4
	v_addc_co_u32_e32 v4, vcc, 0, v0, vcc
	global_load_dword v0, v[3:4], off offset:3968
	v_mov_b32_e32 v3, 0x6f
	s_waitcnt vmcnt(0)
	ds_write_b32 v7, v0 offset:7620
.LBB0_14:
	s_or_b64 exec, exec, s[6:7]
.LBB0_15:
	s_or_b64 exec, exec, s[4:5]
	v_lshl_add_u32 v0, v19, 2, 0
	v_lshlrev_b32_e32 v10, 2, v3
	v_add_u32_e32 v21, v0, v10
	s_waitcnt lgkmcnt(0)
	s_barrier
	v_sub_u32_e32 v11, v0, v10
	ds_read_u16 v14, v21
	ds_read_u16 v15, v11 offset:8064
	s_add_u32 s6, s12, 0x1f78
	s_addc_u32 s7, s13, 0
	v_cmp_ne_u32_e32 vcc, 0, v3
                                        ; implicit-def: $vgpr7_vgpr8
	s_waitcnt lgkmcnt(0)
	v_add_f16_e32 v12, v15, v14
	v_sub_f16_e32 v13, v14, v15
	s_and_saveexec_b64 s[4:5], vcc
	s_xor_b64 s[4:5], exec, s[4:5]
	s_cbranch_execz .LBB0_17
; %bb.16:
	v_mov_b32_e32 v4, 0
	v_lshlrev_b64 v[7:8], 2, v[3:4]
	v_mov_b32_e32 v12, s7
	v_add_co_u32_e32 v7, vcc, s6, v7
	v_addc_co_u32_e32 v8, vcc, v12, v8, vcc
	global_load_dword v7, v[7:8], off
	ds_read_u16 v8, v11 offset:8066
	ds_read_u16 v12, v21 offset:2
	v_add_f16_e32 v13, v15, v14
	v_sub_f16_e32 v14, v14, v15
	s_waitcnt lgkmcnt(0)
	v_add_f16_e32 v15, v8, v12
	v_sub_f16_e32 v8, v12, v8
	s_waitcnt vmcnt(0)
	v_lshrrev_b32_e32 v12, 16, v7
	v_fma_f16 v16, v14, v12, v13
	v_fma_f16 v17, v15, v12, v8
	v_fma_f16 v18, -v14, v12, v13
	v_fma_f16 v8, v15, v12, -v8
	v_fma_f16 v12, -v7, v15, v16
	v_fma_f16 v13, v14, v7, v17
	v_fma_f16 v15, v7, v15, v18
	;; [unrolled: 1-line block ×3, first 2 shown]
	v_pack_b32_f16 v7, v15, v7
	ds_write_b32 v11, v7 offset:8064
	v_mov_b32_e32 v8, v4
	v_mov_b32_e32 v7, v3
.LBB0_17:
	s_andn2_saveexec_b64 s[4:5], s[4:5]
	s_cbranch_execz .LBB0_19
; %bb.18:
	ds_read_b32 v4, v0 offset:4032
	s_mov_b32 s8, 0xc0004000
	v_mov_b32_e32 v7, 0
	v_mov_b32_e32 v8, 0
	s_waitcnt lgkmcnt(0)
	v_pk_mul_f16 v4, v4, s8
	ds_write_b32 v0, v4 offset:4032
.LBB0_19:
	s_or_b64 exec, exec, s[4:5]
	v_lshlrev_b64 v[7:8], 2, v[7:8]
	v_mov_b32_e32 v4, s7
	v_add_co_u32_e32 v7, vcc, s6, v7
	v_addc_co_u32_e32 v8, vcc, v4, v8, vcc
	global_load_dword v4, v[7:8], off offset:448
	global_load_dword v14, v[7:8], off offset:896
	;; [unrolled: 1-line block ×4, first 2 shown]
	s_mov_b32 s4, 0x5040100
	v_perm_b32 v12, v13, v12, s4
	ds_write_b32 v21, v12
	ds_read_b32 v12, v21 offset:448
	ds_read_b32 v13, v11 offset:7616
	global_load_dword v17, v[7:8], off offset:2240
	global_load_dword v18, v[7:8], off offset:2688
	;; [unrolled: 1-line block ×4, first 2 shown]
	v_add_u32_e32 v39, 0x2a0, v3
	v_add_u32_e32 v40, 0x310, v3
	v_or_b32_e32 v41, 0x380, v3
	s_waitcnt lgkmcnt(0)
	v_add_f16_e32 v7, v12, v13
	v_add_f16_sdwa v8, v13, v12 dst_sel:DWORD dst_unused:UNUSED_PAD src0_sel:WORD_1 src1_sel:WORD_1
	v_sub_f16_e32 v23, v12, v13
	v_sub_f16_sdwa v12, v12, v13 dst_sel:DWORD dst_unused:UNUSED_PAD src0_sel:WORD_1 src1_sel:WORD_1
	v_and_b32_e32 v42, 1, v3
	s_mov_b32 s4, 0xffff
	s_movk_i32 s5, 0xfc
	s_movk_i32 s6, 0x5fc
	v_and_b32_e32 v48, 3, v3
	v_lshrrev_b32_e32 v58, 5, v3
	v_mul_u32_u24_e32 v58, 0x60, v58
	s_movk_i32 s7, 0x60
	v_cmp_gt_u32_e32 vcc, s7, v3
	s_waitcnt vmcnt(7)
	v_lshrrev_b32_e32 v13, 16, v4
	v_fma_f16 v24, v23, v13, v7
	v_fma_f16 v25, v8, v13, v12
	v_fma_f16 v7, -v23, v13, v7
	v_fma_f16 v12, v8, v13, -v12
	v_fma_f16 v13, -v4, v8, v24
	v_fma_f16 v24, v23, v4, v25
	v_fma_f16 v7, v4, v8, v7
	v_fma_f16 v4, v23, v4, v12
	v_pack_b32_f16 v8, v13, v24
	v_pack_b32_f16 v4, v7, v4
	ds_write_b32 v21, v8 offset:448
	ds_write_b32 v11, v4 offset:7616
	ds_read_b32 v4, v21 offset:896
	ds_read_b32 v7, v11 offset:7168
	s_waitcnt vmcnt(6)
	v_lshrrev_b32_e32 v8, 16, v14
	s_waitcnt lgkmcnt(0)
	v_add_f16_e32 v12, v4, v7
	v_add_f16_sdwa v13, v7, v4 dst_sel:DWORD dst_unused:UNUSED_PAD src0_sel:WORD_1 src1_sel:WORD_1
	v_sub_f16_e32 v23, v4, v7
	v_sub_f16_sdwa v4, v4, v7 dst_sel:DWORD dst_unused:UNUSED_PAD src0_sel:WORD_1 src1_sel:WORD_1
	v_fma_f16 v7, v23, v8, v12
	v_fma_f16 v24, v13, v8, v4
	v_fma_f16 v12, -v23, v8, v12
	v_fma_f16 v4, v13, v8, -v4
	v_fma_f16 v7, -v14, v13, v7
	v_fma_f16 v8, v23, v14, v24
	v_fma_f16 v12, v14, v13, v12
	v_fma_f16 v4, v23, v14, v4
	v_pack_b32_f16 v7, v7, v8
	v_pack_b32_f16 v4, v12, v4
	ds_write_b32 v21, v7 offset:896
	ds_write_b32 v11, v4 offset:7168
	ds_read_b32 v4, v21 offset:1344
	ds_read_b32 v7, v11 offset:6720
	s_waitcnt vmcnt(5)
	v_lshrrev_b32_e32 v8, 16, v15
	s_waitcnt lgkmcnt(0)
	v_add_f16_e32 v12, v4, v7
	v_add_f16_sdwa v13, v7, v4 dst_sel:DWORD dst_unused:UNUSED_PAD src0_sel:WORD_1 src1_sel:WORD_1
	v_sub_f16_e32 v14, v4, v7
	v_sub_f16_sdwa v4, v4, v7 dst_sel:DWORD dst_unused:UNUSED_PAD src0_sel:WORD_1 src1_sel:WORD_1
	v_fma_f16 v7, v14, v8, v12
	v_fma_f16 v23, v13, v8, v4
	v_fma_f16 v12, -v14, v8, v12
	v_fma_f16 v4, v13, v8, -v4
	v_fma_f16 v7, -v15, v13, v7
	v_fma_f16 v8, v14, v15, v23
	v_fma_f16 v12, v15, v13, v12
	v_fma_f16 v4, v14, v15, v4
	v_pack_b32_f16 v7, v7, v8
	v_pack_b32_f16 v4, v12, v4
	ds_write_b32 v21, v7 offset:1344
	ds_write_b32 v11, v4 offset:6720
	ds_read_b32 v4, v21 offset:1792
	ds_read_b32 v7, v11 offset:6272
	s_waitcnt vmcnt(4)
	v_lshrrev_b32_e32 v8, 16, v16
	s_waitcnt lgkmcnt(0)
	v_add_f16_e32 v12, v4, v7
	v_add_f16_sdwa v13, v7, v4 dst_sel:DWORD dst_unused:UNUSED_PAD src0_sel:WORD_1 src1_sel:WORD_1
	v_sub_f16_e32 v14, v4, v7
	v_sub_f16_sdwa v4, v4, v7 dst_sel:DWORD dst_unused:UNUSED_PAD src0_sel:WORD_1 src1_sel:WORD_1
	v_fma_f16 v7, v14, v8, v12
	v_fma_f16 v15, v13, v8, v4
	v_fma_f16 v12, -v14, v8, v12
	v_fma_f16 v4, v13, v8, -v4
	v_fma_f16 v7, -v16, v13, v7
	v_fma_f16 v8, v14, v16, v15
	v_fma_f16 v12, v16, v13, v12
	v_fma_f16 v4, v14, v16, v4
	v_pack_b32_f16 v7, v7, v8
	v_pack_b32_f16 v4, v12, v4
	ds_write_b32 v21, v7 offset:1792
	ds_write_b32 v11, v4 offset:6272
	ds_read_b32 v4, v21 offset:2240
	ds_read_b32 v7, v11 offset:5824
	s_waitcnt vmcnt(3)
	v_lshrrev_b32_e32 v8, 16, v17
	s_waitcnt lgkmcnt(0)
	v_add_f16_e32 v12, v4, v7
	v_add_f16_sdwa v13, v7, v4 dst_sel:DWORD dst_unused:UNUSED_PAD src0_sel:WORD_1 src1_sel:WORD_1
	v_sub_f16_e32 v14, v4, v7
	v_sub_f16_sdwa v4, v4, v7 dst_sel:DWORD dst_unused:UNUSED_PAD src0_sel:WORD_1 src1_sel:WORD_1
	v_fma_f16 v7, v14, v8, v12
	v_fma_f16 v15, v13, v8, v4
	v_fma_f16 v12, -v14, v8, v12
	v_fma_f16 v4, v13, v8, -v4
	v_fma_f16 v7, -v17, v13, v7
	v_fma_f16 v8, v14, v17, v15
	v_fma_f16 v12, v17, v13, v12
	v_fma_f16 v4, v14, v17, v4
	v_pack_b32_f16 v7, v7, v8
	v_pack_b32_f16 v4, v12, v4
	ds_write_b32 v21, v7 offset:2240
	ds_write_b32 v11, v4 offset:5824
	ds_read_b32 v4, v21 offset:2688
	ds_read_b32 v7, v11 offset:5376
	s_waitcnt vmcnt(2)
	v_lshrrev_b32_e32 v8, 16, v18
	s_waitcnt lgkmcnt(0)
	v_add_f16_e32 v12, v4, v7
	v_add_f16_sdwa v13, v7, v4 dst_sel:DWORD dst_unused:UNUSED_PAD src0_sel:WORD_1 src1_sel:WORD_1
	v_sub_f16_e32 v14, v4, v7
	v_sub_f16_sdwa v4, v4, v7 dst_sel:DWORD dst_unused:UNUSED_PAD src0_sel:WORD_1 src1_sel:WORD_1
	v_fma_f16 v7, v14, v8, v12
	v_fma_f16 v15, v13, v8, v4
	v_fma_f16 v12, -v14, v8, v12
	v_fma_f16 v4, v13, v8, -v4
	v_fma_f16 v7, -v18, v13, v7
	v_fma_f16 v8, v14, v18, v15
	v_fma_f16 v12, v18, v13, v12
	v_fma_f16 v4, v14, v18, v4
	v_pack_b32_f16 v7, v7, v8
	v_pack_b32_f16 v4, v12, v4
	ds_write_b32 v21, v7 offset:2688
	ds_write_b32 v11, v4 offset:5376
	ds_read_b32 v4, v21 offset:3136
	ds_read_b32 v7, v11 offset:4928
	s_waitcnt vmcnt(1)
	v_lshrrev_b32_e32 v8, 16, v20
	s_waitcnt lgkmcnt(0)
	v_add_f16_e32 v12, v4, v7
	v_add_f16_sdwa v13, v7, v4 dst_sel:DWORD dst_unused:UNUSED_PAD src0_sel:WORD_1 src1_sel:WORD_1
	v_sub_f16_e32 v14, v4, v7
	v_sub_f16_sdwa v4, v4, v7 dst_sel:DWORD dst_unused:UNUSED_PAD src0_sel:WORD_1 src1_sel:WORD_1
	v_fma_f16 v7, v14, v8, v12
	v_fma_f16 v15, v13, v8, v4
	v_fma_f16 v12, -v14, v8, v12
	v_fma_f16 v4, v13, v8, -v4
	v_fma_f16 v7, -v20, v13, v7
	v_fma_f16 v8, v14, v20, v15
	v_fma_f16 v12, v20, v13, v12
	;; [unrolled: 1-line block ×3, first 2 shown]
	v_pack_b32_f16 v7, v7, v8
	v_pack_b32_f16 v4, v12, v4
	ds_write_b32 v21, v7 offset:3136
	ds_write_b32 v11, v4 offset:4928
	ds_read_b32 v4, v21 offset:3584
	ds_read_b32 v7, v11 offset:4480
	s_waitcnt lgkmcnt(0)
	v_add_f16_e32 v8, v4, v7
	v_add_f16_sdwa v12, v7, v4 dst_sel:DWORD dst_unused:UNUSED_PAD src0_sel:WORD_1 src1_sel:WORD_1
	v_sub_f16_e32 v13, v4, v7
	v_sub_f16_sdwa v4, v4, v7 dst_sel:DWORD dst_unused:UNUSED_PAD src0_sel:WORD_1 src1_sel:WORD_1
	s_waitcnt vmcnt(0)
	v_lshrrev_b32_e32 v7, 16, v22
	v_fma_f16 v14, v13, v7, v8
	v_fma_f16 v15, v12, v7, v4
	v_fma_f16 v8, -v13, v7, v8
	v_fma_f16 v4, v12, v7, -v4
	v_fma_f16 v14, -v22, v12, v14
	v_fma_f16 v15, v13, v22, v15
	v_fma_f16 v8, v22, v12, v8
	;; [unrolled: 1-line block ×3, first 2 shown]
	v_pack_b32_f16 v14, v14, v15
	v_pack_b32_f16 v4, v8, v4
	v_add_u32_e32 v22, 0, v10
	ds_write_b32 v21, v14 offset:3584
	ds_write_b32 v11, v4 offset:4480
	v_add_u32_e32 v4, v22, v9
	v_add_u32_e32 v8, 0xe00, v4
	s_waitcnt lgkmcnt(0)
	s_barrier
	s_barrier
	ds_read2_b32 v[14:15], v8 offset0:112 offset1:224
	ds_read_b32 v7, v21
	ds_read2_b32 v[16:17], v4 offset0:112 offset1:224
	v_add_u32_e32 v18, v4, v10
	v_add_u32_e32 v11, 0x1200, v4
	ds_read_b32 v35, v4 offset:7616
	s_waitcnt lgkmcnt(2)
	v_pk_add_f16 v20, v7, v14 neg_lo:[0,1] neg_hi:[0,1]
	v_pk_fma_f16 v36, v7, 2.0, v20 op_sel_hi:[1,0,1] neg_lo:[0,0,1] neg_hi:[0,0,1]
	v_add_u32_e32 v7, 0x400, v4
	v_add_u32_e32 v13, 0x1600, v4
	;; [unrolled: 1-line block ×5, first 2 shown]
	ds_read2_b32 v[23:24], v11 offset0:80 offset1:192
	ds_read2_b32 v[25:26], v7 offset0:80 offset1:192
	;; [unrolled: 1-line block ×6, first 2 shown]
	s_waitcnt lgkmcnt(0)
	s_barrier
	ds_write2_b32 v18, v36, v20 offset1:1
	v_add_u32_e32 v18, 0x70, v3
	v_pk_add_f16 v15, v16, v15 neg_lo:[0,1] neg_hi:[0,1]
	v_lshlrev_b32_e32 v20, 3, v18
	v_add3_u32 v20, 0, v20, v9
	v_pk_fma_f16 v16, v16, 2.0, v15 op_sel_hi:[1,0,1] neg_lo:[0,0,1] neg_hi:[0,0,1]
	ds_write2_b32 v20, v16, v15 offset1:1
	v_pk_add_f16 v15, v17, v23 neg_lo:[0,1] neg_hi:[0,1]
	v_add_u32_e32 v20, 0xe0, v3
	v_pk_fma_f16 v16, v17, 2.0, v15 op_sel_hi:[1,0,1] neg_lo:[0,0,1] neg_hi:[0,0,1]
	v_lshlrev_b32_e32 v17, 3, v20
	v_add3_u32 v17, 0, v17, v9
	ds_write2_b32 v17, v16, v15 offset1:1
	v_add_u32_e32 v17, 0x150, v3
	v_pk_add_f16 v15, v25, v24 neg_lo:[0,1] neg_hi:[0,1]
	v_lshlrev_b32_e32 v16, 3, v17
	v_add3_u32 v16, 0, v16, v9
	v_pk_fma_f16 v23, v25, 2.0, v15 op_sel_hi:[1,0,1] neg_lo:[0,0,1] neg_hi:[0,0,1]
	ds_write2_b32 v16, v23, v15 offset1:1
	v_add_u32_e32 v16, 0x1c0, v3
	v_pk_add_f16 v15, v26, v27 neg_lo:[0,1] neg_hi:[0,1]
	v_lshlrev_b32_e32 v24, 3, v16
	v_pk_fma_f16 v23, v26, 2.0, v15 op_sel_hi:[1,0,1] neg_lo:[0,0,1] neg_hi:[0,0,1]
	v_add3_u32 v24, 0, v24, v9
	ds_write2_b32 v24, v23, v15 offset1:1
	v_add_u32_e32 v15, 0x230, v3
	v_pk_add_f16 v23, v29, v28 neg_lo:[0,1] neg_hi:[0,1]
	v_lshlrev_b32_e32 v24, 3, v15
	v_add3_u32 v24, 0, v24, v9
	v_pk_fma_f16 v25, v29, 2.0, v23 op_sel_hi:[1,0,1] neg_lo:[0,0,1] neg_hi:[0,0,1]
	ds_write2_b32 v24, v25, v23 offset1:1
	v_pk_add_f16 v23, v30, v31 neg_lo:[0,1] neg_hi:[0,1]
	v_lshlrev_b32_e32 v25, 3, v39
	v_pk_fma_f16 v24, v30, 2.0, v23 op_sel_hi:[1,0,1] neg_lo:[0,0,1] neg_hi:[0,0,1]
	v_add3_u32 v25, 0, v25, v9
	ds_write2_b32 v25, v24, v23 offset1:1
	v_pk_add_f16 v23, v33, v32 neg_lo:[0,1] neg_hi:[0,1]
	v_lshlrev_b32_e32 v24, 3, v40
	v_add3_u32 v24, 0, v24, v9
	v_pk_fma_f16 v25, v33, 2.0, v23 op_sel_hi:[1,0,1] neg_lo:[0,0,1] neg_hi:[0,0,1]
	ds_write2_b32 v24, v25, v23 offset1:1
	v_pk_add_f16 v23, v34, v35 neg_lo:[0,1] neg_hi:[0,1]
	v_lshlrev_b32_e32 v25, 3, v41
	v_pk_fma_f16 v24, v34, 2.0, v23 op_sel_hi:[1,0,1] neg_lo:[0,0,1] neg_hi:[0,0,1]
	v_add3_u32 v25, 0, v25, v9
	ds_write2_b32 v25, v24, v23 offset1:1
	v_lshlrev_b32_e32 v23, 2, v42
	s_waitcnt lgkmcnt(0)
	s_barrier
	global_load_dword v43, v23, s[12:13]
	ds_read2_b32 v[23:24], v8 offset0:112 offset1:224
	ds_read_b32 v45, v4 offset:7616
	s_waitcnt vmcnt(0) lgkmcnt(1)
	v_pk_mul_f16 v25, v43, v23 op_sel:[0,1]
	v_pk_fma_f16 v26, v43, v23, v25 op_sel:[0,0,1] op_sel_hi:[1,1,0]
	v_pk_fma_f16 v23, v43, v23, v25 op_sel:[0,0,1] op_sel_hi:[1,0,0] neg_lo:[1,0,0] neg_hi:[1,0,0]
	v_bfi_b32 v25, s4, v26, v23
	ds_read_b32 v26, v21
	v_lshlrev_b32_e32 v23, 1, v3
	v_and_or_b32 v27, v23, s5, v42
	v_lshlrev_b32_e32 v27, 2, v27
	v_add3_u32 v44, 0, v27, v9
	s_waitcnt lgkmcnt(0)
	v_pk_add_f16 v46, v26, v25 neg_lo:[0,1] neg_hi:[0,1]
	v_pk_fma_f16 v47, v26, 2.0, v46 op_sel_hi:[1,0,1] neg_lo:[0,0,1] neg_hi:[0,0,1]
	ds_read2_b32 v[25:26], v4 offset0:112 offset1:224
	ds_read2_b32 v[27:28], v11 offset0:80 offset1:192
	;; [unrolled: 1-line block ×7, first 2 shown]
	s_waitcnt lgkmcnt(0)
	s_barrier
	ds_write2_b32 v44, v47, v46 offset1:2
	v_pk_mul_f16 v44, v43, v24 op_sel:[0,1]
	v_pk_fma_f16 v46, v43, v24, v44 op_sel:[0,0,1] op_sel_hi:[1,1,0]
	v_pk_fma_f16 v24, v43, v24, v44 op_sel:[0,0,1] op_sel_hi:[1,0,0] neg_lo:[1,0,0] neg_hi:[1,0,0]
	v_bfi_b32 v44, s4, v46, v24
	s_movk_i32 s5, 0x1fc
	v_lshlrev_b32_e32 v24, 1, v18
	v_and_or_b32 v46, v24, s5, v42
	v_lshlrev_b32_e32 v46, 2, v46
	v_pk_add_f16 v44, v25, v44 neg_lo:[0,1] neg_hi:[0,1]
	v_add3_u32 v46, 0, v46, v9
	v_pk_fma_f16 v25, v25, 2.0, v44 op_sel_hi:[1,0,1] neg_lo:[0,0,1] neg_hi:[0,0,1]
	ds_write2_b32 v46, v25, v44 offset1:2
	v_pk_mul_f16 v25, v43, v27 op_sel:[0,1]
	v_pk_fma_f16 v44, v43, v27, v25 op_sel:[0,0,1] op_sel_hi:[1,1,0]
	v_pk_fma_f16 v25, v43, v27, v25 op_sel:[0,0,1] op_sel_hi:[1,0,0] neg_lo:[1,0,0] neg_hi:[1,0,0]
	v_bfi_b32 v25, s4, v44, v25
	v_pk_add_f16 v27, v26, v25 neg_lo:[0,1] neg_hi:[0,1]
	s_movk_i32 s5, 0x3fc
	v_lshlrev_b32_e32 v25, 1, v20
	v_and_or_b32 v44, v25, s5, v42
	v_lshlrev_b32_e32 v44, 2, v44
	v_pk_fma_f16 v26, v26, 2.0, v27 op_sel_hi:[1,0,1] neg_lo:[0,0,1] neg_hi:[0,0,1]
	v_add3_u32 v44, 0, v44, v9
	ds_write2_b32 v44, v26, v27 offset1:2
	v_pk_mul_f16 v26, v43, v28 op_sel:[0,1]
	v_pk_fma_f16 v27, v43, v28, v26 op_sel:[0,0,1] op_sel_hi:[1,1,0]
	v_pk_fma_f16 v26, v43, v28, v26 op_sel:[0,0,1] op_sel_hi:[1,0,0] neg_lo:[1,0,0] neg_hi:[1,0,0]
	v_bfi_b32 v27, s4, v27, v26
	v_lshlrev_b32_e32 v26, 1, v17
	v_and_or_b32 v28, v26, s5, v42
	v_lshlrev_b32_e32 v28, 2, v28
	v_pk_add_f16 v27, v29, v27 neg_lo:[0,1] neg_hi:[0,1]
	v_add3_u32 v28, 0, v28, v9
	v_pk_fma_f16 v29, v29, 2.0, v27 op_sel_hi:[1,0,1] neg_lo:[0,0,1] neg_hi:[0,0,1]
	ds_write2_b32 v28, v29, v27 offset1:2
	v_pk_mul_f16 v27, v43, v31 op_sel:[0,1]
	v_pk_fma_f16 v28, v43, v31, v27 op_sel:[0,0,1] op_sel_hi:[1,1,0]
	v_pk_fma_f16 v27, v43, v31, v27 op_sel:[0,0,1] op_sel_hi:[1,0,0] neg_lo:[1,0,0] neg_hi:[1,0,0]
	v_bfi_b32 v27, s4, v28, v27
	v_pk_add_f16 v28, v30, v27 neg_lo:[0,1] neg_hi:[0,1]
	s_movk_i32 s5, 0x7fc
	v_lshlrev_b32_e32 v27, 1, v16
	v_pk_fma_f16 v29, v30, 2.0, v28 op_sel_hi:[1,0,1] neg_lo:[0,0,1] neg_hi:[0,0,1]
	v_and_or_b32 v30, v27, s5, v42
	v_lshlrev_b32_e32 v30, 2, v30
	v_add3_u32 v30, 0, v30, v9
	ds_write2_b32 v30, v29, v28 offset1:2
	v_pk_mul_f16 v28, v43, v32 op_sel:[0,1]
	v_pk_fma_f16 v29, v43, v32, v28 op_sel:[0,0,1] op_sel_hi:[1,1,0]
	v_pk_fma_f16 v28, v43, v32, v28 op_sel:[0,0,1] op_sel_hi:[1,0,0] neg_lo:[1,0,0] neg_hi:[1,0,0]
	v_bfi_b32 v29, s4, v29, v28
	v_lshlrev_b32_e32 v28, 1, v15
	v_and_or_b32 v30, v28, s6, v42
	v_lshlrev_b32_e32 v30, 2, v30
	v_pk_add_f16 v29, v33, v29 neg_lo:[0,1] neg_hi:[0,1]
	v_add3_u32 v30, 0, v30, v9
	v_pk_fma_f16 v31, v33, 2.0, v29 op_sel_hi:[1,0,1] neg_lo:[0,0,1] neg_hi:[0,0,1]
	ds_write2_b32 v30, v31, v29 offset1:2
	v_pk_mul_f16 v29, v37, v43 op_sel:[0,1]
	v_pk_fma_f16 v30, v37, v43, v29 op_sel:[0,0,1] op_sel_hi:[1,1,0]
	v_pk_fma_f16 v29, v37, v43, v29 op_sel:[0,0,1] op_sel_hi:[1,0,0] neg_lo:[0,0,1] neg_hi:[0,0,1]
	v_bfi_b32 v29, s4, v30, v29
	v_pk_add_f16 v30, v34, v29 neg_lo:[0,1] neg_hi:[0,1]
	v_lshlrev_b32_e32 v29, 1, v39
	v_and_or_b32 v32, v29, s5, v42
	v_lshlrev_b32_e32 v32, 2, v32
	v_pk_fma_f16 v31, v34, 2.0, v30 op_sel_hi:[1,0,1] neg_lo:[0,0,1] neg_hi:[0,0,1]
	v_add3_u32 v32, 0, v32, v9
	ds_write2_b32 v32, v31, v30 offset1:2
	v_pk_mul_f16 v30, v38, v43 op_sel:[0,1]
	v_pk_fma_f16 v31, v38, v43, v30 op_sel:[0,0,1] op_sel_hi:[1,1,0]
	v_pk_fma_f16 v30, v38, v43, v30 op_sel:[0,0,1] op_sel_hi:[1,0,0] neg_lo:[0,0,1] neg_hi:[0,0,1]
	v_bfi_b32 v31, s4, v31, v30
	v_lshlrev_b32_e32 v30, 1, v40
	v_and_or_b32 v32, v30, s5, v42
	v_lshlrev_b32_e32 v32, 2, v32
	v_pk_add_f16 v31, v35, v31 neg_lo:[0,1] neg_hi:[0,1]
	v_add3_u32 v32, 0, v32, v9
	v_pk_fma_f16 v33, v35, 2.0, v31 op_sel_hi:[1,0,1] neg_lo:[0,0,1] neg_hi:[0,0,1]
	ds_write2_b32 v32, v33, v31 offset1:2
	v_pk_mul_f16 v31, v45, v43 op_sel:[0,1]
	v_pk_fma_f16 v32, v45, v43, v31 op_sel:[0,0,1] op_sel_hi:[1,1,0]
	v_pk_fma_f16 v31, v45, v43, v31 op_sel:[0,0,1] op_sel_hi:[1,0,0] neg_lo:[0,0,1] neg_hi:[0,0,1]
	v_bfi_b32 v31, s4, v32, v31
	v_pk_add_f16 v32, v36, v31 neg_lo:[0,1] neg_hi:[0,1]
	v_lshlrev_b32_e32 v31, 1, v41
	v_and_or_b32 v34, v31, s5, v42
	v_lshlrev_b32_e32 v34, 2, v34
	v_pk_fma_f16 v33, v36, 2.0, v32 op_sel_hi:[1,0,1] neg_lo:[0,0,1] neg_hi:[0,0,1]
	v_add3_u32 v34, 0, v34, v9
	ds_write2_b32 v34, v33, v32 offset1:2
	v_lshlrev_b32_e32 v32, 2, v48
	s_waitcnt lgkmcnt(0)
	s_barrier
	global_load_dword v49, v32, s[12:13] offset:8
	ds_read2_b32 v[32:33], v8 offset0:112 offset1:224
	s_movk_i32 s5, 0xf8
	ds_read_b32 v51, v4 offset:7616
	s_movk_i32 s6, 0x5f8
	s_waitcnt vmcnt(0) lgkmcnt(1)
	v_pk_mul_f16 v34, v49, v32 op_sel:[0,1]
	v_pk_fma_f16 v35, v49, v32, v34 op_sel:[0,0,1] op_sel_hi:[1,1,0]
	v_pk_fma_f16 v32, v49, v32, v34 op_sel:[0,0,1] op_sel_hi:[1,0,0] neg_lo:[1,0,0] neg_hi:[1,0,0]
	ds_read_b32 v34, v21
	v_bfi_b32 v32, s4, v35, v32
	v_and_or_b32 v35, v23, s5, v48
	v_lshlrev_b32_e32 v35, 2, v35
	v_add3_u32 v50, 0, v35, v9
	s_waitcnt lgkmcnt(0)
	v_pk_add_f16 v32, v34, v32 neg_lo:[0,1] neg_hi:[0,1]
	v_pk_fma_f16 v52, v34, 2.0, v32 op_sel_hi:[1,0,1] neg_lo:[0,0,1] neg_hi:[0,0,1]
	ds_read2_b32 v[34:35], v4 offset0:112 offset1:224
	ds_read2_b32 v[36:37], v11 offset0:80 offset1:192
	;; [unrolled: 1-line block ×7, first 2 shown]
	s_waitcnt lgkmcnt(0)
	s_barrier
	ds_write2_b32 v50, v52, v32 offset1:4
	v_pk_mul_f16 v32, v49, v33 op_sel:[0,1]
	v_pk_fma_f16 v50, v49, v33, v32 op_sel:[0,0,1] op_sel_hi:[1,1,0]
	v_pk_fma_f16 v32, v49, v33, v32 op_sel:[0,0,1] op_sel_hi:[1,0,0] neg_lo:[1,0,0] neg_hi:[1,0,0]
	s_movk_i32 s5, 0x1f8
	v_bfi_b32 v32, s4, v50, v32
	v_and_or_b32 v33, v24, s5, v48
	v_lshlrev_b32_e32 v33, 2, v33
	v_pk_add_f16 v32, v34, v32 neg_lo:[0,1] neg_hi:[0,1]
	v_add3_u32 v33, 0, v33, v9
	v_pk_fma_f16 v34, v34, 2.0, v32 op_sel_hi:[1,0,1] neg_lo:[0,0,1] neg_hi:[0,0,1]
	ds_write2_b32 v33, v34, v32 offset1:4
	v_pk_mul_f16 v32, v49, v36 op_sel:[0,1]
	v_pk_fma_f16 v33, v49, v36, v32 op_sel:[0,0,1] op_sel_hi:[1,1,0]
	v_pk_fma_f16 v32, v49, v36, v32 op_sel:[0,0,1] op_sel_hi:[1,0,0] neg_lo:[1,0,0] neg_hi:[1,0,0]
	s_movk_i32 s5, 0x3f8
	v_bfi_b32 v32, s4, v33, v32
	v_and_or_b32 v34, v25, s5, v48
	v_pk_add_f16 v32, v35, v32 neg_lo:[0,1] neg_hi:[0,1]
	v_lshlrev_b32_e32 v34, 2, v34
	v_pk_fma_f16 v33, v35, 2.0, v32 op_sel_hi:[1,0,1] neg_lo:[0,0,1] neg_hi:[0,0,1]
	v_add3_u32 v34, 0, v34, v9
	ds_write2_b32 v34, v33, v32 offset1:4
	v_pk_mul_f16 v32, v49, v37 op_sel:[0,1]
	v_pk_fma_f16 v33, v49, v37, v32 op_sel:[0,0,1] op_sel_hi:[1,1,0]
	v_pk_fma_f16 v32, v49, v37, v32 op_sel:[0,0,1] op_sel_hi:[1,0,0] neg_lo:[1,0,0] neg_hi:[1,0,0]
	v_bfi_b32 v32, s4, v33, v32
	v_and_or_b32 v33, v26, s5, v48
	v_lshlrev_b32_e32 v33, 2, v33
	v_pk_add_f16 v32, v38, v32 neg_lo:[0,1] neg_hi:[0,1]
	v_add3_u32 v33, 0, v33, v9
	v_pk_fma_f16 v34, v38, 2.0, v32 op_sel_hi:[1,0,1] neg_lo:[0,0,1] neg_hi:[0,0,1]
	ds_write2_b32 v33, v34, v32 offset1:4
	v_pk_mul_f16 v32, v49, v40 op_sel:[0,1]
	v_pk_fma_f16 v33, v49, v40, v32 op_sel:[0,0,1] op_sel_hi:[1,1,0]
	v_pk_fma_f16 v32, v49, v40, v32 op_sel:[0,0,1] op_sel_hi:[1,0,0] neg_lo:[1,0,0] neg_hi:[1,0,0]
	s_movk_i32 s5, 0x7f8
	v_bfi_b32 v32, s4, v33, v32
	v_and_or_b32 v34, v27, s5, v48
	v_pk_add_f16 v32, v39, v32 neg_lo:[0,1] neg_hi:[0,1]
	v_lshlrev_b32_e32 v34, 2, v34
	v_pk_fma_f16 v33, v39, 2.0, v32 op_sel_hi:[1,0,1] neg_lo:[0,0,1] neg_hi:[0,0,1]
	v_add3_u32 v34, 0, v34, v9
	ds_write2_b32 v34, v33, v32 offset1:4
	v_pk_mul_f16 v32, v49, v41 op_sel:[0,1]
	v_pk_fma_f16 v33, v49, v41, v32 op_sel:[0,0,1] op_sel_hi:[1,1,0]
	v_pk_fma_f16 v32, v49, v41, v32 op_sel:[0,0,1] op_sel_hi:[1,0,0] neg_lo:[1,0,0] neg_hi:[1,0,0]
	v_bfi_b32 v32, s4, v33, v32
	v_and_or_b32 v33, v28, s6, v48
	v_lshlrev_b32_e32 v33, 2, v33
	v_pk_add_f16 v32, v42, v32 neg_lo:[0,1] neg_hi:[0,1]
	v_add3_u32 v33, 0, v33, v9
	v_pk_fma_f16 v34, v42, 2.0, v32 op_sel_hi:[1,0,1] neg_lo:[0,0,1] neg_hi:[0,0,1]
	ds_write2_b32 v33, v34, v32 offset1:4
	v_pk_mul_f16 v32, v49, v44 op_sel:[0,1]
	v_pk_fma_f16 v33, v49, v44, v32 op_sel:[0,0,1] op_sel_hi:[1,1,0]
	v_pk_fma_f16 v32, v49, v44, v32 op_sel:[0,0,1] op_sel_hi:[1,0,0] neg_lo:[1,0,0] neg_hi:[1,0,0]
	v_bfi_b32 v32, s4, v33, v32
	v_and_or_b32 v34, v29, s5, v48
	v_pk_add_f16 v32, v43, v32 neg_lo:[0,1] neg_hi:[0,1]
	v_lshlrev_b32_e32 v34, 2, v34
	v_pk_fma_f16 v33, v43, 2.0, v32 op_sel_hi:[1,0,1] neg_lo:[0,0,1] neg_hi:[0,0,1]
	v_add3_u32 v34, 0, v34, v9
	ds_write2_b32 v34, v33, v32 offset1:4
	v_pk_mul_f16 v32, v45, v49 op_sel:[0,1]
	v_pk_fma_f16 v33, v45, v49, v32 op_sel:[0,0,1] op_sel_hi:[1,1,0]
	v_pk_fma_f16 v32, v45, v49, v32 op_sel:[0,0,1] op_sel_hi:[1,0,0] neg_lo:[0,0,1] neg_hi:[0,0,1]
	v_bfi_b32 v32, s4, v33, v32
	v_and_or_b32 v33, v30, s5, v48
	v_lshlrev_b32_e32 v33, 2, v33
	v_pk_add_f16 v32, v46, v32 neg_lo:[0,1] neg_hi:[0,1]
	v_add3_u32 v33, 0, v33, v9
	v_pk_fma_f16 v34, v46, 2.0, v32 op_sel_hi:[1,0,1] neg_lo:[0,0,1] neg_hi:[0,0,1]
	ds_write2_b32 v33, v34, v32 offset1:4
	v_pk_mul_f16 v32, v51, v49 op_sel:[0,1]
	v_pk_fma_f16 v33, v51, v49, v32 op_sel:[0,0,1] op_sel_hi:[1,1,0]
	v_pk_fma_f16 v32, v51, v49, v32 op_sel:[0,0,1] op_sel_hi:[1,0,0] neg_lo:[0,0,1] neg_hi:[0,0,1]
	v_bfi_b32 v32, s4, v33, v32
	v_and_or_b32 v34, v31, s5, v48
	v_pk_add_f16 v32, v47, v32 neg_lo:[0,1] neg_hi:[0,1]
	v_lshlrev_b32_e32 v34, 2, v34
	v_pk_fma_f16 v33, v47, 2.0, v32 op_sel_hi:[1,0,1] neg_lo:[0,0,1] neg_hi:[0,0,1]
	v_add3_u32 v34, 0, v34, v9
	v_and_b32_e32 v48, 7, v3
	ds_write2_b32 v34, v33, v32 offset1:4
	v_lshlrev_b32_e32 v32, 2, v48
	s_waitcnt lgkmcnt(0)
	s_barrier
	global_load_dword v49, v32, s[12:13] offset:24
	ds_read2_b32 v[32:33], v8 offset0:112 offset1:224
	s_movk_i32 s5, 0xf0
	ds_read_b32 v51, v4 offset:7616
	s_movk_i32 s6, 0x5f0
	s_waitcnt vmcnt(0) lgkmcnt(1)
	v_pk_mul_f16 v34, v49, v32 op_sel:[0,1]
	v_pk_fma_f16 v35, v49, v32, v34 op_sel:[0,0,1] op_sel_hi:[1,1,0]
	v_pk_fma_f16 v32, v49, v32, v34 op_sel:[0,0,1] op_sel_hi:[1,0,0] neg_lo:[1,0,0] neg_hi:[1,0,0]
	ds_read_b32 v34, v21
	v_bfi_b32 v32, s4, v35, v32
	v_and_or_b32 v35, v23, s5, v48
	v_lshlrev_b32_e32 v35, 2, v35
	v_add3_u32 v50, 0, v35, v9
	s_waitcnt lgkmcnt(0)
	v_pk_add_f16 v32, v34, v32 neg_lo:[0,1] neg_hi:[0,1]
	v_pk_fma_f16 v52, v34, 2.0, v32 op_sel_hi:[1,0,1] neg_lo:[0,0,1] neg_hi:[0,0,1]
	ds_read2_b32 v[34:35], v4 offset0:112 offset1:224
	ds_read2_b32 v[36:37], v11 offset0:80 offset1:192
	;; [unrolled: 1-line block ×7, first 2 shown]
	s_waitcnt lgkmcnt(0)
	s_barrier
	ds_write2_b32 v50, v52, v32 offset1:8
	v_pk_mul_f16 v32, v49, v33 op_sel:[0,1]
	v_pk_fma_f16 v50, v49, v33, v32 op_sel:[0,0,1] op_sel_hi:[1,1,0]
	v_pk_fma_f16 v32, v49, v33, v32 op_sel:[0,0,1] op_sel_hi:[1,0,0] neg_lo:[1,0,0] neg_hi:[1,0,0]
	s_movk_i32 s5, 0x1f0
	v_bfi_b32 v32, s4, v50, v32
	v_and_or_b32 v33, v24, s5, v48
	v_lshlrev_b32_e32 v33, 2, v33
	v_pk_add_f16 v32, v34, v32 neg_lo:[0,1] neg_hi:[0,1]
	v_add3_u32 v33, 0, v33, v9
	v_pk_fma_f16 v34, v34, 2.0, v32 op_sel_hi:[1,0,1] neg_lo:[0,0,1] neg_hi:[0,0,1]
	ds_write2_b32 v33, v34, v32 offset1:8
	v_pk_mul_f16 v32, v49, v36 op_sel:[0,1]
	v_pk_fma_f16 v33, v49, v36, v32 op_sel:[0,0,1] op_sel_hi:[1,1,0]
	v_pk_fma_f16 v32, v49, v36, v32 op_sel:[0,0,1] op_sel_hi:[1,0,0] neg_lo:[1,0,0] neg_hi:[1,0,0]
	s_movk_i32 s5, 0x3f0
	v_bfi_b32 v32, s4, v33, v32
	v_and_or_b32 v34, v25, s5, v48
	v_pk_add_f16 v32, v35, v32 neg_lo:[0,1] neg_hi:[0,1]
	v_lshlrev_b32_e32 v34, 2, v34
	v_pk_fma_f16 v33, v35, 2.0, v32 op_sel_hi:[1,0,1] neg_lo:[0,0,1] neg_hi:[0,0,1]
	v_add3_u32 v34, 0, v34, v9
	ds_write2_b32 v34, v33, v32 offset1:8
	v_pk_mul_f16 v32, v49, v37 op_sel:[0,1]
	v_pk_fma_f16 v33, v49, v37, v32 op_sel:[0,0,1] op_sel_hi:[1,1,0]
	v_pk_fma_f16 v32, v49, v37, v32 op_sel:[0,0,1] op_sel_hi:[1,0,0] neg_lo:[1,0,0] neg_hi:[1,0,0]
	v_bfi_b32 v32, s4, v33, v32
	v_and_or_b32 v33, v26, s5, v48
	v_lshlrev_b32_e32 v33, 2, v33
	v_pk_add_f16 v32, v38, v32 neg_lo:[0,1] neg_hi:[0,1]
	v_add3_u32 v33, 0, v33, v9
	v_pk_fma_f16 v34, v38, 2.0, v32 op_sel_hi:[1,0,1] neg_lo:[0,0,1] neg_hi:[0,0,1]
	ds_write2_b32 v33, v34, v32 offset1:8
	v_pk_mul_f16 v32, v49, v40 op_sel:[0,1]
	v_pk_fma_f16 v33, v49, v40, v32 op_sel:[0,0,1] op_sel_hi:[1,1,0]
	v_pk_fma_f16 v32, v49, v40, v32 op_sel:[0,0,1] op_sel_hi:[1,0,0] neg_lo:[1,0,0] neg_hi:[1,0,0]
	s_movk_i32 s5, 0x7f0
	v_bfi_b32 v32, s4, v33, v32
	v_and_or_b32 v34, v27, s5, v48
	v_pk_add_f16 v32, v39, v32 neg_lo:[0,1] neg_hi:[0,1]
	v_lshlrev_b32_e32 v34, 2, v34
	v_pk_fma_f16 v33, v39, 2.0, v32 op_sel_hi:[1,0,1] neg_lo:[0,0,1] neg_hi:[0,0,1]
	v_add3_u32 v34, 0, v34, v9
	ds_write2_b32 v34, v33, v32 offset1:8
	v_pk_mul_f16 v32, v49, v41 op_sel:[0,1]
	v_pk_fma_f16 v33, v49, v41, v32 op_sel:[0,0,1] op_sel_hi:[1,1,0]
	v_pk_fma_f16 v32, v49, v41, v32 op_sel:[0,0,1] op_sel_hi:[1,0,0] neg_lo:[1,0,0] neg_hi:[1,0,0]
	v_bfi_b32 v32, s4, v33, v32
	v_and_or_b32 v33, v28, s6, v48
	v_lshlrev_b32_e32 v33, 2, v33
	v_pk_add_f16 v32, v42, v32 neg_lo:[0,1] neg_hi:[0,1]
	v_add3_u32 v33, 0, v33, v9
	v_pk_fma_f16 v34, v42, 2.0, v32 op_sel_hi:[1,0,1] neg_lo:[0,0,1] neg_hi:[0,0,1]
	ds_write2_b32 v33, v34, v32 offset1:8
	v_pk_mul_f16 v32, v49, v44 op_sel:[0,1]
	v_pk_fma_f16 v33, v49, v44, v32 op_sel:[0,0,1] op_sel_hi:[1,1,0]
	v_pk_fma_f16 v32, v49, v44, v32 op_sel:[0,0,1] op_sel_hi:[1,0,0] neg_lo:[1,0,0] neg_hi:[1,0,0]
	v_bfi_b32 v32, s4, v33, v32
	v_and_or_b32 v34, v29, s5, v48
	v_pk_add_f16 v32, v43, v32 neg_lo:[0,1] neg_hi:[0,1]
	v_lshlrev_b32_e32 v34, 2, v34
	v_pk_fma_f16 v33, v43, 2.0, v32 op_sel_hi:[1,0,1] neg_lo:[0,0,1] neg_hi:[0,0,1]
	v_add3_u32 v34, 0, v34, v9
	ds_write2_b32 v34, v33, v32 offset1:8
	v_pk_mul_f16 v32, v45, v49 op_sel:[0,1]
	v_pk_fma_f16 v33, v45, v49, v32 op_sel:[0,0,1] op_sel_hi:[1,1,0]
	v_pk_fma_f16 v32, v45, v49, v32 op_sel:[0,0,1] op_sel_hi:[1,0,0] neg_lo:[0,0,1] neg_hi:[0,0,1]
	v_bfi_b32 v32, s4, v33, v32
	v_and_or_b32 v33, v30, s5, v48
	v_lshlrev_b32_e32 v33, 2, v33
	v_pk_add_f16 v32, v46, v32 neg_lo:[0,1] neg_hi:[0,1]
	v_add3_u32 v33, 0, v33, v9
	v_pk_fma_f16 v34, v46, 2.0, v32 op_sel_hi:[1,0,1] neg_lo:[0,0,1] neg_hi:[0,0,1]
	ds_write2_b32 v33, v34, v32 offset1:8
	v_pk_mul_f16 v32, v51, v49 op_sel:[0,1]
	v_pk_fma_f16 v33, v51, v49, v32 op_sel:[0,0,1] op_sel_hi:[1,1,0]
	v_pk_fma_f16 v32, v51, v49, v32 op_sel:[0,0,1] op_sel_hi:[1,0,0] neg_lo:[0,0,1] neg_hi:[0,0,1]
	v_bfi_b32 v32, s4, v33, v32
	v_and_or_b32 v34, v31, s5, v48
	v_pk_add_f16 v32, v47, v32 neg_lo:[0,1] neg_hi:[0,1]
	v_lshlrev_b32_e32 v34, 2, v34
	v_pk_fma_f16 v33, v47, 2.0, v32 op_sel_hi:[1,0,1] neg_lo:[0,0,1] neg_hi:[0,0,1]
	v_add3_u32 v34, 0, v34, v9
	v_and_b32_e32 v48, 15, v3
	ds_write2_b32 v34, v33, v32 offset1:8
	v_lshlrev_b32_e32 v32, 2, v48
	s_waitcnt lgkmcnt(0)
	s_barrier
	global_load_dword v49, v32, s[12:13] offset:56
	ds_read2_b32 v[32:33], v8 offset0:112 offset1:224
	s_movk_i32 s5, 0xe0
	v_and_or_b32 v23, v23, s5, v48
	v_lshlrev_b32_e32 v23, 2, v23
	ds_read_b32 v50, v4 offset:7616
	v_add3_u32 v23, 0, v23, v9
	s_movk_i32 s5, 0x1e0
	v_and_or_b32 v24, v24, s5, v48
	v_lshlrev_b32_e32 v24, 2, v24
	v_add3_u32 v24, 0, v24, v9
	s_movk_i32 s5, 0x3e0
	v_and_or_b32 v25, v25, s5, v48
	v_lshlrev_b32_e32 v25, 2, v25
	v_add3_u32 v25, 0, v25, v9
	s_movk_i32 s6, 0x5e0
	s_waitcnt vmcnt(0) lgkmcnt(1)
	v_pk_mul_f16 v34, v49, v32 op_sel:[0,1]
	v_pk_fma_f16 v35, v49, v32, v34 op_sel:[0,0,1] op_sel_hi:[1,1,0]
	v_pk_fma_f16 v32, v49, v32, v34 op_sel:[0,0,1] op_sel_hi:[1,0,0] neg_lo:[1,0,0] neg_hi:[1,0,0]
	ds_read_b32 v34, v21
	v_bfi_b32 v32, s4, v35, v32
	s_waitcnt lgkmcnt(0)
	v_pk_add_f16 v32, v34, v32 neg_lo:[0,1] neg_hi:[0,1]
	v_pk_fma_f16 v51, v34, 2.0, v32 op_sel_hi:[1,0,1] neg_lo:[0,0,1] neg_hi:[0,0,1]
	ds_read2_b32 v[34:35], v4 offset0:112 offset1:224
	ds_read2_b32 v[36:37], v11 offset0:80 offset1:192
	;; [unrolled: 1-line block ×7, first 2 shown]
	s_waitcnt lgkmcnt(0)
	s_barrier
	ds_write2_b32 v23, v51, v32 offset1:16
	v_pk_mul_f16 v23, v49, v33 op_sel:[0,1]
	v_pk_fma_f16 v32, v49, v33, v23 op_sel:[0,0,1] op_sel_hi:[1,1,0]
	v_pk_fma_f16 v23, v49, v33, v23 op_sel:[0,0,1] op_sel_hi:[1,0,0] neg_lo:[1,0,0] neg_hi:[1,0,0]
	v_bfi_b32 v23, s4, v32, v23
	v_pk_add_f16 v23, v34, v23 neg_lo:[0,1] neg_hi:[0,1]
	v_pk_fma_f16 v32, v34, 2.0, v23 op_sel_hi:[1,0,1] neg_lo:[0,0,1] neg_hi:[0,0,1]
	ds_write2_b32 v24, v32, v23 offset1:16
	v_pk_mul_f16 v23, v49, v36 op_sel:[0,1]
	v_pk_fma_f16 v24, v49, v36, v23 op_sel:[0,0,1] op_sel_hi:[1,1,0]
	v_pk_fma_f16 v23, v49, v36, v23 op_sel:[0,0,1] op_sel_hi:[1,0,0] neg_lo:[1,0,0] neg_hi:[1,0,0]
	v_bfi_b32 v23, s4, v24, v23
	v_pk_add_f16 v23, v35, v23 neg_lo:[0,1] neg_hi:[0,1]
	v_pk_fma_f16 v24, v35, 2.0, v23 op_sel_hi:[1,0,1] neg_lo:[0,0,1] neg_hi:[0,0,1]
	ds_write2_b32 v25, v24, v23 offset1:16
	v_pk_mul_f16 v23, v49, v37 op_sel:[0,1]
	v_pk_fma_f16 v24, v49, v37, v23 op_sel:[0,0,1] op_sel_hi:[1,1,0]
	v_pk_fma_f16 v23, v49, v37, v23 op_sel:[0,0,1] op_sel_hi:[1,0,0] neg_lo:[1,0,0] neg_hi:[1,0,0]
	v_bfi_b32 v23, s4, v24, v23
	v_and_or_b32 v24, v26, s5, v48
	v_lshlrev_b32_e32 v24, 2, v24
	v_pk_add_f16 v23, v38, v23 neg_lo:[0,1] neg_hi:[0,1]
	v_add3_u32 v24, 0, v24, v9
	v_pk_fma_f16 v25, v38, 2.0, v23 op_sel_hi:[1,0,1] neg_lo:[0,0,1] neg_hi:[0,0,1]
	ds_write2_b32 v24, v25, v23 offset1:16
	v_pk_mul_f16 v23, v49, v40 op_sel:[0,1]
	v_pk_fma_f16 v24, v49, v40, v23 op_sel:[0,0,1] op_sel_hi:[1,1,0]
	v_pk_fma_f16 v23, v49, v40, v23 op_sel:[0,0,1] op_sel_hi:[1,0,0] neg_lo:[1,0,0] neg_hi:[1,0,0]
	s_movk_i32 s5, 0x7e0
	v_bfi_b32 v23, s4, v24, v23
	v_and_or_b32 v25, v27, s5, v48
	v_pk_add_f16 v23, v39, v23 neg_lo:[0,1] neg_hi:[0,1]
	v_lshlrev_b32_e32 v25, 2, v25
	v_pk_fma_f16 v24, v39, 2.0, v23 op_sel_hi:[1,0,1] neg_lo:[0,0,1] neg_hi:[0,0,1]
	v_add3_u32 v25, 0, v25, v9
	ds_write2_b32 v25, v24, v23 offset1:16
	v_pk_mul_f16 v23, v49, v41 op_sel:[0,1]
	v_pk_fma_f16 v24, v49, v41, v23 op_sel:[0,0,1] op_sel_hi:[1,1,0]
	v_pk_fma_f16 v23, v49, v41, v23 op_sel:[0,0,1] op_sel_hi:[1,0,0] neg_lo:[1,0,0] neg_hi:[1,0,0]
	v_bfi_b32 v23, s4, v24, v23
	v_and_or_b32 v24, v28, s6, v48
	v_lshlrev_b32_e32 v24, 2, v24
	v_pk_add_f16 v23, v42, v23 neg_lo:[0,1] neg_hi:[0,1]
	v_add3_u32 v24, 0, v24, v9
	v_pk_fma_f16 v25, v42, 2.0, v23 op_sel_hi:[1,0,1] neg_lo:[0,0,1] neg_hi:[0,0,1]
	ds_write2_b32 v24, v25, v23 offset1:16
	v_pk_mul_f16 v23, v49, v44 op_sel:[0,1]
	v_pk_fma_f16 v24, v49, v44, v23 op_sel:[0,0,1] op_sel_hi:[1,1,0]
	v_pk_fma_f16 v23, v49, v44, v23 op_sel:[0,0,1] op_sel_hi:[1,0,0] neg_lo:[1,0,0] neg_hi:[1,0,0]
	v_bfi_b32 v23, s4, v24, v23
	v_and_or_b32 v25, v29, s5, v48
	v_pk_add_f16 v23, v43, v23 neg_lo:[0,1] neg_hi:[0,1]
	v_lshlrev_b32_e32 v25, 2, v25
	v_pk_fma_f16 v24, v43, 2.0, v23 op_sel_hi:[1,0,1] neg_lo:[0,0,1] neg_hi:[0,0,1]
	v_add3_u32 v25, 0, v25, v9
	ds_write2_b32 v25, v24, v23 offset1:16
	v_pk_mul_f16 v23, v45, v49 op_sel:[0,1]
	v_pk_fma_f16 v24, v45, v49, v23 op_sel:[0,0,1] op_sel_hi:[1,1,0]
	v_pk_fma_f16 v23, v45, v49, v23 op_sel:[0,0,1] op_sel_hi:[1,0,0] neg_lo:[0,0,1] neg_hi:[0,0,1]
	v_bfi_b32 v23, s4, v24, v23
	v_and_or_b32 v24, v30, s5, v48
	v_lshlrev_b32_e32 v24, 2, v24
	v_pk_add_f16 v23, v46, v23 neg_lo:[0,1] neg_hi:[0,1]
	v_add3_u32 v24, 0, v24, v9
	v_pk_fma_f16 v25, v46, 2.0, v23 op_sel_hi:[1,0,1] neg_lo:[0,0,1] neg_hi:[0,0,1]
	ds_write2_b32 v24, v25, v23 offset1:16
	v_pk_mul_f16 v23, v50, v49 op_sel:[0,1]
	v_pk_fma_f16 v24, v50, v49, v23 op_sel:[0,0,1] op_sel_hi:[1,1,0]
	v_pk_fma_f16 v23, v50, v49, v23 op_sel:[0,0,1] op_sel_hi:[1,0,0] neg_lo:[0,0,1] neg_hi:[0,0,1]
	v_and_or_b32 v25, v31, s5, v48
	v_bfi_b32 v23, s4, v24, v23
	v_pk_add_f16 v23, v47, v23 neg_lo:[0,1] neg_hi:[0,1]
	v_lshlrev_b32_e32 v25, 2, v25
	v_pk_fma_f16 v24, v47, 2.0, v23 op_sel_hi:[1,0,1] neg_lo:[0,0,1] neg_hi:[0,0,1]
	v_add3_u32 v25, 0, v25, v9
	v_and_b32_e32 v31, 31, v15
	ds_write2_b32 v25, v24, v23 offset1:16
	v_and_b32_e32 v30, 31, v18
	v_lshlrev_b32_e32 v23, 3, v31
	s_waitcnt lgkmcnt(0)
	s_barrier
	v_lshlrev_b32_e32 v24, 3, v30
	global_load_dword v32, v23, s[12:13] offset:120
	global_load_dword v33, v23, s[12:13] offset:122
	;; [unrolled: 1-line block ×3, first 2 shown]
	global_load_ushort v35, v23, s[12:13] offset:126
	global_load_ushort v29, v24, s[12:13] offset:120
	v_and_b32_e32 v36, 31, v3
	v_lshlrev_b32_e32 v23, 3, v36
	global_load_dwordx2 v[23:24], v23, s[12:13] offset:120
	v_and_b32_e32 v37, 31, v17
	v_lshlrev_b32_e32 v25, 3, v37
	global_load_ushort v38, v25, s[12:13] offset:122
	global_load_ushort v39, v25, s[12:13] offset:120
	;; [unrolled: 1-line block ×4, first 2 shown]
	ds_read2_b32 v[25:26], v14 offset0:16 offset1:128
	ds_read2_b32 v[27:28], v13 offset0:48 offset1:160
	ds_read_u16 v45, v4 offset:3586
	ds_read_b32 v47, v4 offset:7616
	ds_read_b32 v48, v21
	s_mov_b32 s4, 0xbaee
	s_waitcnt lgkmcnt(4)
	v_lshrrev_b32_e32 v42, 16, v25
	s_movk_i32 s5, 0x3aee
	v_or_b32_e32 v58, v58, v36
	v_lshlrev_b32_e32 v58, 2, v58
	v_add3_u32 v58, 0, v58, v9
	s_movk_i32 s6, 0xab
	s_waitcnt vmcnt(9)
	v_mul_f16_sdwa v43, v32, v25 dst_sel:DWORD dst_unused:UNUSED_PAD src0_sel:WORD_1 src1_sel:DWORD
	s_waitcnt vmcnt(7) lgkmcnt(3)
	v_mul_f16_sdwa v44, v34, v27 dst_sel:DWORD dst_unused:UNUSED_PAD src0_sel:WORD_1 src1_sel:DWORD
	s_waitcnt vmcnt(5)
	v_fma_f16 v43, v29, v42, -v43
	v_mul_f16_sdwa v42, v32, v42 dst_sel:DWORD dst_unused:UNUSED_PAD src0_sel:WORD_1 src1_sel:DWORD
	v_fma_f16 v42, v29, v25, v42
	v_lshrrev_b32_e32 v25, 16, v33
	v_lshrrev_b32_e32 v29, 16, v27
	v_fma_f16 v44, v25, v29, -v44
	v_mul_f16_sdwa v29, v34, v29 dst_sel:DWORD dst_unused:UNUSED_PAD src0_sel:WORD_1 src1_sel:DWORD
	v_fma_f16 v46, v25, v27, v29
	s_waitcnt vmcnt(4) lgkmcnt(2)
	v_mul_f16_sdwa v25, v45, v23 dst_sel:DWORD dst_unused:UNUSED_PAD src0_sel:DWORD src1_sel:WORD_1
	v_fma_f16 v49, v23, v26, v25
	v_mul_f16_sdwa v25, v23, v26 dst_sel:DWORD dst_unused:UNUSED_PAD src0_sel:WORD_1 src1_sel:DWORD
	v_fma_f16 v45, v45, v23, -v25
	ds_read2_b32 v[25:26], v8 offset0:112 offset1:224
	v_lshrrev_b32_e32 v27, 16, v28
	v_mul_f16_sdwa v29, v27, v24 dst_sel:DWORD dst_unused:UNUSED_PAD src0_sel:DWORD src1_sel:WORD_1
	v_fma_f16 v50, v28, v24, v29
	v_mul_f16_sdwa v28, v28, v24 dst_sel:DWORD dst_unused:UNUSED_PAD src0_sel:DWORD src1_sel:WORD_1
	v_fma_f16 v51, v27, v24, -v28
	s_waitcnt lgkmcnt(0)
	v_lshrrev_b32_e32 v27, 16, v25
	s_waitcnt vmcnt(3)
	v_mul_f16_e32 v28, v27, v38
	v_mul_f16_e32 v29, v25, v38
	s_waitcnt vmcnt(2)
	v_fma_f16 v38, v27, v39, -v29
	v_fma_f16 v39, v25, v39, v28
	ds_read2_b32 v[27:28], v10 offset0:48 offset1:160
	v_lshrrev_b32_e32 v25, 16, v26
	v_mul_f16_sdwa v29, v25, v23 dst_sel:DWORD dst_unused:UNUSED_PAD src0_sel:DWORD src1_sel:WORD_1
	v_fma_f16 v52, v26, v23, v29
	v_mul_f16_sdwa v26, v26, v23 dst_sel:DWORD dst_unused:UNUSED_PAD src0_sel:DWORD src1_sel:WORD_1
	v_fma_f16 v53, v25, v23, -v26
	s_waitcnt lgkmcnt(0)
	v_lshrrev_b32_e32 v29, 16, v28
	ds_read2_b32 v[25:26], v11 offset0:80 offset1:192
	v_mul_f16_sdwa v54, v23, v28 dst_sel:DWORD dst_unused:UNUSED_PAD src0_sel:WORD_1 src1_sel:DWORD
	v_fma_f16 v54, v23, v29, -v54
	v_mul_f16_sdwa v29, v23, v29 dst_sel:DWORD dst_unused:UNUSED_PAD src0_sel:WORD_1 src1_sel:DWORD
	v_fma_f16 v23, v23, v28, v29
	ds_read2_b32 v[28:29], v12 offset0:16 offset1:128
	s_waitcnt lgkmcnt(1)
	v_lshrrev_b32_e32 v55, 16, v26
	v_mul_f16_sdwa v56, v24, v26 dst_sel:DWORD dst_unused:UNUSED_PAD src0_sel:WORD_1 src1_sel:DWORD
	v_fma_f16 v56, v24, v55, -v56
	v_mul_f16_sdwa v55, v24, v55 dst_sel:DWORD dst_unused:UNUSED_PAD src0_sel:WORD_1 src1_sel:DWORD
	v_fma_f16 v26, v24, v26, v55
	s_waitcnt lgkmcnt(0)
	v_lshrrev_b32_e32 v55, 16, v29
	v_mul_f16_sdwa v57, v29, v24 dst_sel:DWORD dst_unused:UNUSED_PAD src0_sel:DWORD src1_sel:WORD_1
	v_fma_f16 v57, v55, v24, -v57
	v_mul_f16_sdwa v55, v55, v24 dst_sel:DWORD dst_unused:UNUSED_PAD src0_sel:DWORD src1_sel:WORD_1
	v_fma_f16 v29, v29, v24, v55
	v_lshrrev_b32_e32 v24, 16, v28
	s_waitcnt vmcnt(1)
	v_mul_f16_e32 v55, v24, v40
	s_waitcnt vmcnt(0)
	v_fma_f16 v55, v28, v41, v55
	v_mul_f16_e32 v28, v28, v40
	v_fma_f16 v28, v24, v41, -v28
	v_lshrrev_b32_e32 v24, 16, v25
	v_mul_f16_e32 v40, v24, v33
	v_fma_f16 v40, v25, v32, v40
	v_mul_f16_e32 v25, v25, v33
	v_fma_f16 v32, v24, v32, -v25
	v_lshrrev_b32_e32 v24, 16, v47
	v_mul_f16_e32 v25, v24, v35
	v_fma_f16 v33, v47, v34, v25
	v_mul_f16_e32 v25, v47, v35
	v_fma_f16 v34, v24, v34, -v25
	v_lshrrev_b32_e32 v24, 16, v48
	v_add_f16_e32 v41, v54, v56
	v_add_f16_e32 v25, v24, v54
	v_fma_f16 v41, v41, -0.5, v24
	v_add_f16_e32 v24, v23, v26
	v_fma_f16 v47, v24, -0.5, v48
	v_add_f16_e32 v24, v48, v23
	v_add_f16_e32 v25, v25, v56
	v_sub_f16_e32 v35, v54, v56
	v_add_f16_e32 v24, v24, v26
	v_sub_f16_e32 v48, v23, v26
	v_pack_b32_f16 v54, v24, v25
	v_fma_f16 v23, v35, s4, v47
	v_fma_f16 v24, v48, s5, v41
	v_pack_b32_f16 v56, v23, v24
	ds_read2_b32 v[23:24], v4 offset0:112 offset1:224
	ds_read2_b32 v[25:26], v7 offset0:80 offset1:192
	v_fma_f16 v35, v35, s5, v47
	v_fma_f16 v41, v48, s4, v41
	v_pack_b32_f16 v35, v35, v41
	s_waitcnt lgkmcnt(0)
	s_barrier
	ds_write_b32 v58, v35 offset:256
	v_lshrrev_b32_e32 v35, 16, v23
	v_add_f16_e32 v41, v35, v43
	v_sub_f16_e32 v47, v43, v44
	v_add_f16_e32 v43, v43, v44
	v_fma_f16 v35, v43, -0.5, v35
	v_add_f16_e32 v43, v23, v42
	v_add_f16_e32 v41, v41, v44
	;; [unrolled: 1-line block ×4, first 2 shown]
	v_sub_f16_e32 v42, v42, v46
	v_lshrrev_b32_e32 v46, 5, v18
	v_mul_u32_u24_e32 v46, 0x60, v46
	v_or_b32_e32 v30, v46, v30
	v_fma_f16 v23, v44, -0.5, v23
	v_pack_b32_f16 v41, v43, v41
	v_fma_f16 v43, v47, s4, v23
	v_fma_f16 v44, v42, s5, v35
	v_lshlrev_b32_e32 v30, 2, v30
	v_fma_f16 v23, v47, s5, v23
	v_fma_f16 v35, v42, s4, v35
	v_pack_b32_f16 v43, v43, v44
	v_add3_u32 v30, 0, v30, v9
	v_pack_b32_f16 v23, v23, v35
	ds_write2_b32 v58, v54, v56 offset1:32
	ds_write2_b32 v30, v41, v43 offset1:32
	ds_write_b32 v30, v23 offset:256
	v_add_f16_e32 v23, v49, v50
	v_lshrrev_b32_e32 v30, 16, v24
	v_fma_f16 v23, v23, -0.5, v24
	v_add_f16_e32 v24, v24, v49
	v_add_f16_e32 v35, v30, v45
	;; [unrolled: 1-line block ×4, first 2 shown]
	v_sub_f16_e32 v41, v45, v51
	v_fma_f16 v30, v42, -0.5, v30
	v_add_f16_e32 v24, v24, v50
	v_sub_f16_e32 v42, v49, v50
	v_pack_b32_f16 v24, v24, v35
	v_fma_f16 v35, v41, s4, v23
	v_fma_f16 v43, v42, s5, v30
	v_pack_b32_f16 v35, v35, v43
	v_lshrrev_b32_e32 v43, 5, v20
	v_mul_u32_u24_e32 v43, 0x60, v43
	v_or_b32_e32 v43, v43, v36
	v_lshlrev_b32_e32 v43, 2, v43
	v_add3_u32 v43, 0, v43, v9
	ds_write2_b32 v43, v24, v35 offset1:32
	v_fma_f16 v23, v41, s5, v23
	v_fma_f16 v24, v42, s4, v30
	v_pack_b32_f16 v23, v23, v24
	ds_write_b32 v43, v23 offset:256
	v_lshrrev_b32_e32 v23, 16, v25
	v_add_f16_e32 v24, v23, v38
	v_add_f16_e32 v24, v24, v28
	v_sub_f16_e32 v30, v38, v28
	v_add_f16_e32 v28, v38, v28
	v_fma_f16 v23, v28, -0.5, v23
	v_add_f16_e32 v28, v25, v39
	v_add_f16_e32 v35, v39, v55
	v_sub_f16_e32 v38, v39, v55
	v_lshrrev_b32_e32 v39, 5, v17
	v_add_f16_e32 v28, v28, v55
	v_mul_u32_u24_e32 v39, 0x60, v39
	v_fma_f16 v25, v35, -0.5, v25
	v_or_b32_e32 v37, v39, v37
	v_pack_b32_f16 v24, v28, v24
	v_fma_f16 v28, v30, s4, v25
	v_fma_f16 v35, v38, s5, v23
	v_pack_b32_f16 v28, v28, v35
	v_lshlrev_b32_e32 v35, 2, v37
	v_add3_u32 v35, 0, v35, v9
	ds_write2_b32 v35, v24, v28 offset1:32
	v_fma_f16 v24, v30, s5, v25
	v_fma_f16 v23, v38, s4, v23
	v_pack_b32_f16 v23, v24, v23
	ds_write_b32 v35, v23 offset:256
	v_add_f16_e32 v23, v52, v29
	v_lshrrev_b32_e32 v24, 16, v26
	v_add_f16_e32 v30, v53, v57
	v_fma_f16 v23, v23, -0.5, v26
	v_add_f16_e32 v25, v26, v52
	v_add_f16_e32 v26, v24, v53
	v_fma_f16 v24, v30, -0.5, v24
	v_lshrrev_b32_e32 v30, 5, v16
	v_mul_u32_u24_e32 v30, 0x60, v30
	v_add_f16_e32 v26, v26, v57
	v_sub_f16_e32 v28, v53, v57
	v_add_f16_e32 v25, v25, v29
	v_sub_f16_e32 v29, v52, v29
	v_or_b32_e32 v30, v30, v36
	v_pack_b32_f16 v25, v25, v26
	v_fma_f16 v26, v28, s4, v23
	v_fma_f16 v35, v29, s5, v24
	v_lshlrev_b32_e32 v30, 2, v30
	v_fma_f16 v23, v28, s5, v23
	v_fma_f16 v24, v29, s4, v24
	v_pack_b32_f16 v26, v26, v35
	v_add3_u32 v30, 0, v30, v9
	v_pack_b32_f16 v23, v23, v24
	v_lshrrev_b32_e32 v24, 16, v27
	v_lshrrev_b32_e32 v29, 5, v15
	ds_write2_b32 v30, v25, v26 offset1:32
	ds_write_b32 v30, v23 offset:256
	v_add_f16_e32 v23, v40, v33
	v_add_f16_e32 v25, v27, v40
	;; [unrolled: 1-line block ×4, first 2 shown]
	v_mul_u32_u24_e32 v29, 0x60, v29
	v_fma_f16 v23, v23, -0.5, v27
	v_add_f16_e32 v26, v26, v34
	v_sub_f16_e32 v27, v32, v34
	v_fma_f16 v24, v28, -0.5, v24
	v_add_f16_e32 v25, v25, v33
	v_sub_f16_e32 v28, v40, v33
	v_or_b32_e32 v29, v29, v31
	v_pack_b32_f16 v25, v25, v26
	v_fma_f16 v26, v27, s4, v23
	v_fma_f16 v30, v28, s5, v24
	v_lshlrev_b32_e32 v29, 2, v29
	v_fma_f16 v23, v27, s5, v23
	v_fma_f16 v24, v28, s4, v24
	v_add3_u32 v29, 0, v29, v9
	v_pack_b32_f16 v23, v23, v24
	ds_write_b32 v29, v23 offset:256
	v_mul_lo_u16_sdwa v23, v18, s6 dst_sel:DWORD dst_unused:UNUSED_PAD src0_sel:BYTE_0 src1_sel:DWORD
	s_mov_b32 s6, 0xaaab
	v_mul_u32_u24_sdwa v27, v16, s6 dst_sel:DWORD dst_unused:UNUSED_PAD src0_sel:WORD_0 src1_sel:DWORD
	v_lshrrev_b16_e32 v33, 14, v23
	v_lshrrev_b32_e32 v39, 22, v27
	v_mul_lo_u16_e32 v23, 0x60, v33
	v_mul_lo_u16_e32 v27, 0x60, v39
	v_sub_u16_e32 v34, v18, v23
	v_mov_b32_e32 v18, 3
	v_sub_u16_e32 v40, v16, v27
	v_pack_b32_f16 v26, v26, v30
	v_lshlrev_b32_sdwa v18, v18, v34 dst_sel:DWORD dst_unused:UNUSED_PAD src0_sel:DWORD src1_sel:BYTE_0
	v_lshlrev_b32_e32 v16, 3, v40
	ds_write2_b32 v29, v25, v26 offset1:32
	s_waitcnt lgkmcnt(0)
	s_barrier
	global_load_dwordx2 v[23:24], v18, s[12:13] offset:376
	global_load_dwordx2 v[27:28], v16, s[12:13] offset:376
	v_mul_u32_u24_sdwa v18, v20, s6 dst_sel:DWORD dst_unused:UNUSED_PAD src0_sel:WORD_0 src1_sel:DWORD
	v_lshrrev_b32_e32 v35, 22, v18
	v_mul_lo_u16_e32 v18, 0x60, v35
	v_sub_u16_e32 v36, v20, v18
	v_lshlrev_b32_e32 v18, 3, v36
	global_load_dwordx2 v[25:26], v18, s[12:13] offset:376
	v_mul_u32_u24_sdwa v18, v17, s6 dst_sel:DWORD dst_unused:UNUSED_PAD src0_sel:WORD_0 src1_sel:DWORD
	v_lshrrev_b32_e32 v37, 22, v18
	v_mul_lo_u16_e32 v18, 0x60, v37
	v_sub_u16_e32 v38, v17, v18
	v_lshlrev_b32_e32 v17, 3, v38
	global_load_dwordx2 v[17:18], v17, s[12:13] offset:376
	v_add_u32_e32 v29, 0xffffffa0, v3
	v_cndmask_b32_e32 v43, v29, v3, vcc
	v_mul_u32_u24_sdwa v16, v15, s6 dst_sel:DWORD dst_unused:UNUSED_PAD src0_sel:WORD_0 src1_sel:DWORD
	v_lshlrev_b32_e32 v29, 1, v43
	v_mov_b32_e32 v30, 0
	v_lshrrev_b32_e32 v41, 22, v16
	v_lshlrev_b64 v[29:30], 2, v[29:30]
	v_mul_lo_u16_e32 v16, 0x60, v41
	v_sub_u16_e32 v42, v15, v16
	v_mov_b32_e32 v31, s13
	v_add_co_u32_e32 v29, vcc, s12, v29
	v_lshlrev_b32_e32 v15, 3, v42
	v_addc_co_u32_e32 v30, vcc, v31, v30, vcc
	global_load_dwordx2 v[29:30], v[29:30], off offset:376
	ds_read2_b32 v[31:32], v14 offset0:16 offset1:128
	global_load_dwordx2 v[15:16], v15, s[12:13] offset:376
	ds_read2_b32 v[13:14], v13 offset0:48 offset1:160
	s_movk_i32 s6, 0x5f
	v_cmp_lt_u32_e32 vcc, s6, v3
	s_waitcnt lgkmcnt(1)
	v_lshrrev_b32_e32 v44, 16, v31
	s_movk_i32 s6, 0x480
	v_mad_u32_u24 v33, v33, s6, 0
	s_waitcnt vmcnt(5)
	v_mul_f16_sdwa v45, v23, v31 dst_sel:DWORD dst_unused:UNUSED_PAD src0_sel:WORD_1 src1_sel:DWORD
	v_fma_f16 v45, v23, v44, -v45
	v_mul_f16_sdwa v44, v23, v44 dst_sel:DWORD dst_unused:UNUSED_PAD src0_sel:WORD_1 src1_sel:DWORD
	v_fma_f16 v31, v23, v31, v44
	s_waitcnt lgkmcnt(0)
	v_lshrrev_b32_e32 v23, 16, v13
	v_mul_f16_sdwa v44, v24, v13 dst_sel:DWORD dst_unused:UNUSED_PAD src0_sel:WORD_1 src1_sel:DWORD
	v_fma_f16 v44, v24, v23, -v44
	v_mul_f16_sdwa v23, v24, v23 dst_sel:DWORD dst_unused:UNUSED_PAD src0_sel:WORD_1 src1_sel:DWORD
	v_fma_f16 v46, v24, v13, v23
	v_lshrrev_b32_e32 v13, 16, v32
	s_waitcnt vmcnt(3)
	v_mul_f16_sdwa v23, v13, v25 dst_sel:DWORD dst_unused:UNUSED_PAD src0_sel:DWORD src1_sel:WORD_1
	v_fma_f16 v47, v32, v25, v23
	v_mul_f16_sdwa v23, v32, v25 dst_sel:DWORD dst_unused:UNUSED_PAD src0_sel:DWORD src1_sel:WORD_1
	v_fma_f16 v25, v13, v25, -v23
	v_lshrrev_b32_e32 v13, 16, v14
	ds_read2_b32 v[23:24], v8 offset0:112 offset1:224
	v_mul_f16_sdwa v8, v13, v26 dst_sel:DWORD dst_unused:UNUSED_PAD src0_sel:DWORD src1_sel:WORD_1
	v_fma_f16 v32, v14, v26, v8
	v_mul_f16_sdwa v8, v14, v26 dst_sel:DWORD dst_unused:UNUSED_PAD src0_sel:DWORD src1_sel:WORD_1
	v_fma_f16 v14, v13, v26, -v8
	ds_read2_b32 v[12:13], v12 offset0:16 offset1:128
	s_waitcnt lgkmcnt(1)
	v_lshrrev_b32_e32 v8, 16, v23
	s_waitcnt vmcnt(2)
	v_mul_f16_sdwa v26, v23, v17 dst_sel:DWORD dst_unused:UNUSED_PAD src0_sel:DWORD src1_sel:WORD_1
	v_fma_f16 v26, v8, v17, -v26
	v_mul_f16_sdwa v8, v8, v17 dst_sel:DWORD dst_unused:UNUSED_PAD src0_sel:DWORD src1_sel:WORD_1
	v_fma_f16 v17, v23, v17, v8
	s_waitcnt lgkmcnt(0)
	v_lshrrev_b32_e32 v8, 16, v12
	v_mul_f16_sdwa v23, v12, v18 dst_sel:DWORD dst_unused:UNUSED_PAD src0_sel:DWORD src1_sel:WORD_1
	v_fma_f16 v23, v8, v18, -v23
	v_mul_f16_sdwa v8, v8, v18 dst_sel:DWORD dst_unused:UNUSED_PAD src0_sel:DWORD src1_sel:WORD_1
	v_fma_f16 v18, v12, v18, v8
	v_lshrrev_b32_e32 v8, 16, v24
	v_mul_f16_sdwa v12, v8, v27 dst_sel:DWORD dst_unused:UNUSED_PAD src0_sel:DWORD src1_sel:WORD_1
	v_fma_f16 v48, v24, v27, v12
	v_mul_f16_sdwa v12, v24, v27 dst_sel:DWORD dst_unused:UNUSED_PAD src0_sel:DWORD src1_sel:WORD_1
	v_fma_f16 v24, v8, v27, -v12
	v_lshrrev_b32_e32 v8, 16, v13
	ds_read_b32 v27, v4 offset:7616
	v_mul_f16_sdwa v12, v8, v28 dst_sel:DWORD dst_unused:UNUSED_PAD src0_sel:DWORD src1_sel:WORD_1
	v_fma_f16 v49, v13, v28, v12
	v_mul_f16_sdwa v12, v13, v28 dst_sel:DWORD dst_unused:UNUSED_PAD src0_sel:DWORD src1_sel:WORD_1
	v_fma_f16 v13, v8, v28, -v12
	ds_read2_b32 v[11:12], v11 offset0:80 offset1:192
	s_waitcnt lgkmcnt(1)
	v_lshrrev_b32_e32 v28, 16, v27
	s_waitcnt vmcnt(0)
	v_mul_f16_sdwa v50, v28, v16 dst_sel:DWORD dst_unused:UNUSED_PAD src0_sel:DWORD src1_sel:WORD_1
	v_fma_f16 v50, v27, v16, v50
	v_mul_f16_sdwa v27, v27, v16 dst_sel:DWORD dst_unused:UNUSED_PAD src0_sel:DWORD src1_sel:WORD_1
	v_fma_f16 v16, v28, v16, -v27
	s_waitcnt lgkmcnt(0)
	v_lshrrev_b32_e32 v27, 16, v11
	v_mul_f16_sdwa v28, v11, v15 dst_sel:DWORD dst_unused:UNUSED_PAD src0_sel:DWORD src1_sel:WORD_1
	v_fma_f16 v51, v27, v15, -v28
	v_mul_f16_sdwa v27, v27, v15 dst_sel:DWORD dst_unused:UNUSED_PAD src0_sel:DWORD src1_sel:WORD_1
	v_fma_f16 v15, v11, v15, v27
	ds_read2_b32 v[10:11], v10 offset0:48 offset1:160
	ds_read_b32 v8, v21
	v_lshrrev_b32_e32 v27, 16, v12
	v_mul_f16_sdwa v28, v30, v27 dst_sel:DWORD dst_unused:UNUSED_PAD src0_sel:WORD_1 src1_sel:DWORD
	v_fma_f16 v28, v30, v12, v28
	v_mul_f16_sdwa v12, v30, v12 dst_sel:DWORD dst_unused:UNUSED_PAD src0_sel:WORD_1 src1_sel:DWORD
	v_fma_f16 v12, v30, v27, -v12
	s_waitcnt lgkmcnt(1)
	v_lshrrev_b32_e32 v27, 16, v11
	v_mul_f16_sdwa v30, v29, v11 dst_sel:DWORD dst_unused:UNUSED_PAD src0_sel:WORD_1 src1_sel:DWORD
	v_fma_f16 v30, v29, v27, -v30
	v_mul_f16_sdwa v27, v29, v27 dst_sel:DWORD dst_unused:UNUSED_PAD src0_sel:WORD_1 src1_sel:DWORD
	v_fma_f16 v11, v29, v11, v27
	s_waitcnt lgkmcnt(0)
	v_lshrrev_b32_e32 v27, 16, v8
	v_add_f16_e32 v29, v27, v30
	v_add_f16_e32 v29, v29, v12
	v_sub_f16_e32 v52, v30, v12
	v_add_f16_e32 v12, v30, v12
	v_fma_f16 v27, v12, -0.5, v27
	v_add_f16_e32 v12, v11, v28
	v_fma_f16 v30, v12, -0.5, v8
	v_add_f16_e32 v8, v8, v11
	v_add_f16_e32 v8, v8, v28
	v_sub_f16_e32 v28, v11, v28
	v_mov_b32_e32 v11, 0x480
	v_cndmask_b32_e32 v11, 0, v11, vcc
	v_add_u32_e32 v11, 0, v11
	v_lshlrev_b32_e32 v12, 2, v43
	v_add3_u32 v43, v11, v12, v9
	v_pack_b32_f16 v29, v8, v29
	v_fma_f16 v8, v52, s4, v30
	v_fma_f16 v11, v28, s5, v27
	v_pack_b32_f16 v53, v8, v11
	ds_read2_b32 v[7:8], v7 offset0:80 offset1:192
	ds_read2_b32 v[11:12], v4 offset0:112 offset1:224
	s_waitcnt lgkmcnt(0)
	s_barrier
	ds_write2_b32 v43, v29, v53 offset1:96
	v_fma_f16 v29, v52, s5, v30
	v_fma_f16 v27, v28, s4, v27
	v_pack_b32_f16 v27, v29, v27
	ds_write_b32 v43, v27 offset:768
	v_lshrrev_b32_e32 v27, 16, v11
	v_add_f16_e32 v28, v27, v45
	v_add_f16_e32 v30, v45, v44
	v_add_f16_e32 v28, v28, v44
	v_sub_f16_e32 v29, v45, v44
	v_fma_f16 v27, v30, -0.5, v27
	v_add_f16_e32 v30, v11, v31
	v_add_f16_e32 v43, v31, v46
	v_mov_b32_e32 v44, 2
	v_add_f16_e32 v30, v30, v46
	v_sub_f16_e32 v31, v31, v46
	v_lshlrev_b32_sdwa v34, v44, v34 dst_sel:DWORD dst_unused:UNUSED_PAD src0_sel:DWORD src1_sel:BYTE_0
	v_fma_f16 v11, v43, -0.5, v11
	v_add3_u32 v33, v33, v34, v9
	v_pack_b32_f16 v28, v30, v28
	v_fma_f16 v30, v29, s4, v11
	v_fma_f16 v34, v31, s5, v27
	;; [unrolled: 1-line block ×4, first 2 shown]
	v_pack_b32_f16 v30, v30, v34
	v_pack_b32_f16 v11, v11, v27
	v_lshrrev_b32_e32 v27, 16, v12
	ds_write2_b32 v33, v28, v30 offset1:96
	ds_write_b32 v33, v11 offset:768
	v_add_f16_e32 v11, v47, v32
	v_add_f16_e32 v28, v27, v25
	v_fma_f16 v11, v11, -0.5, v12
	v_add_f16_e32 v12, v12, v47
	v_add_f16_e32 v28, v28, v14
	v_sub_f16_e32 v29, v25, v14
	v_add_f16_e32 v14, v25, v14
	v_fma_f16 v14, v14, -0.5, v27
	v_add_f16_e32 v12, v12, v32
	v_sub_f16_e32 v25, v47, v32
	v_mad_u32_u24 v27, v35, s6, 0
	v_lshlrev_b32_e32 v30, 2, v36
	v_add3_u32 v27, v27, v30, v9
	v_pack_b32_f16 v12, v12, v28
	v_fma_f16 v28, v29, s4, v11
	v_fma_f16 v30, v25, s5, v14
	v_pack_b32_f16 v28, v28, v30
	ds_write2_b32 v27, v12, v28 offset1:96
	v_fma_f16 v11, v29, s5, v11
	v_fma_f16 v12, v25, s4, v14
	v_pack_b32_f16 v11, v11, v12
	ds_write_b32 v27, v11 offset:768
	v_lshrrev_b32_e32 v11, 16, v7
	v_add_f16_e32 v12, v11, v26
	v_add_f16_e32 v12, v12, v23
	v_sub_f16_e32 v14, v26, v23
	v_add_f16_e32 v23, v26, v23
	v_fma_f16 v11, v23, -0.5, v11
	v_add_f16_e32 v23, v7, v17
	v_add_f16_e32 v25, v17, v18
	;; [unrolled: 1-line block ×3, first 2 shown]
	v_sub_f16_e32 v17, v17, v18
	v_fma_f16 v7, v25, -0.5, v7
	v_mad_u32_u24 v18, v37, s6, 0
	v_lshlrev_b32_e32 v26, 2, v38
	v_pack_b32_f16 v12, v23, v12
	v_fma_f16 v23, v14, s4, v7
	v_fma_f16 v25, v17, s5, v11
	;; [unrolled: 1-line block ×4, first 2 shown]
	v_add3_u32 v18, v18, v26, v9
	v_pack_b32_f16 v7, v7, v11
	v_pack_b32_f16 v23, v23, v25
	ds_write_b32 v18, v7 offset:768
	v_add_f16_e32 v7, v48, v49
	ds_write2_b32 v18, v12, v23 offset1:96
	v_fma_f16 v7, v7, -0.5, v8
	v_sub_f16_e32 v12, v24, v13
	v_lshrrev_b32_e32 v11, 16, v8
	v_fma_f16 v14, v12, s4, v7
	v_fma_f16 v23, v12, s5, v7
	v_add_f16_e32 v12, v24, v13
	v_add_f16_e32 v7, v11, v24
	v_fma_f16 v11, v12, -0.5, v11
	v_sub_f16_e32 v12, v48, v49
	v_add_f16_e32 v7, v7, v13
	v_fma_f16 v13, v12, s5, v11
	v_fma_f16 v24, v12, s4, v11
	v_add_f16_e32 v11, v15, v50
	v_fma_f16 v11, v11, -0.5, v10
	v_lshrrev_b32_e32 v12, 16, v10
	v_sub_f16_e32 v17, v51, v16
	v_fma_f16 v25, v17, s4, v11
	v_fma_f16 v27, v17, s5, v11
	v_add_f16_e32 v11, v12, v51
	v_add_f16_e32 v10, v10, v15
	;; [unrolled: 1-line block ×5, first 2 shown]
	v_fma_f16 v11, v11, -0.5, v12
	v_add_f16_e32 v26, v10, v50
	v_sub_f16_e32 v10, v15, v50
	v_add_f16_e32 v8, v8, v49
	v_fma_f16 v29, v10, s5, v11
	v_fma_f16 v30, v10, s4, v11
	v_mad_u32_u24 v10, v39, s6, 0
	v_lshlrev_b32_e32 v11, 2, v40
	v_add3_u32 v10, v10, v11, v9
	v_pack_b32_f16 v7, v8, v7
	v_pack_b32_f16 v8, v14, v13
	ds_write2_b32 v10, v7, v8 offset1:96
	v_pack_b32_f16 v7, v23, v24
	ds_write_b32 v10, v7 offset:768
	v_mad_u32_u24 v7, v41, s6, 0
	v_lshlrev_b32_e32 v8, 2, v42
	v_add3_u32 v7, v7, v8, v9
	v_pack_b32_f16 v8, v26, v28
	v_pack_b32_f16 v9, v25, v29
	ds_write2_b32 v7, v8, v9 offset1:96
	v_pack_b32_f16 v8, v27, v30
	v_add_u32_e32 v9, 0x600, v4
	ds_write_b32 v7, v8 offset:768
	s_waitcnt lgkmcnt(0)
	s_barrier
	ds_read2_b32 v[11:12], v9 offset0:16 offset1:192
	v_add_u32_e32 v9, 0xa00, v4
	ds_read2_b32 v[13:14], v9 offset0:48 offset1:224
	v_add_u32_e32 v9, 0xf00, v4
	;; [unrolled: 2-line block ×3, first 2 shown]
	v_add_u32_e32 v7, 0x100, v4
	ds_read2_b32 v[15:16], v9 offset0:48 offset1:224
	v_add_u32_e32 v9, 0x1800, v4
	ds_read2_b32 v[7:8], v7 offset0:48 offset1:224
	ds_read2_b32 v[9:10], v9 offset0:16 offset1:192
	ds_read_b32 v36, v21
	ds_read_b32 v37, v4 offset:7360
	v_cmp_gt_u32_e32 vcc, 64, v3
                                        ; implicit-def: $vgpr31
                                        ; implicit-def: $vgpr21
                                        ; implicit-def: $vgpr35
                                        ; implicit-def: $vgpr34
                                        ; implicit-def: $vgpr33
                                        ; implicit-def: $vgpr32
	s_and_saveexec_b64 s[4:5], vcc
	s_cbranch_execz .LBB0_21
; %bb.20:
	ds_read_b32 v23, v4 offset:896
	ds_read_b32 v26, v4 offset:2048
	;; [unrolled: 1-line block ×7, first 2 shown]
	s_waitcnt lgkmcnt(6)
	v_lshrrev_b32_e32 v24, 16, v23
	s_waitcnt lgkmcnt(5)
	v_lshrrev_b32_e32 v28, 16, v26
	;; [unrolled: 2-line block ×7, first 2 shown]
.LBB0_21:
	s_or_b64 exec, exec, s[4:5]
	v_mul_u32_u24_e32 v38, 6, v3
	v_lshlrev_b32_e32 v53, 2, v38
	global_load_dwordx4 v[38:41], v53, s[12:13] offset:1144
	s_waitcnt lgkmcnt(3)
	v_lshrrev_b32_e32 v52, 16, v8
	v_lshrrev_b32_e32 v51, 16, v12
	;; [unrolled: 1-line block ×3, first 2 shown]
	v_lshl_add_u32 v22, v19, 2, v22
	v_lshrrev_b32_e32 v19, 16, v18
	v_lshrrev_b32_e32 v49, 16, v16
	s_waitcnt lgkmcnt(2)
	v_lshrrev_b32_e32 v48, 16, v10
	v_lshrrev_b32_e32 v47, 16, v11
	;; [unrolled: 1-line block ×6, first 2 shown]
	s_waitcnt lgkmcnt(0)
	v_lshrrev_b32_e32 v45, 16, v37
	s_movk_i32 s8, 0x2b26
	s_mov_b32 s6, 0xbb00
	s_mov_b32 s9, 0xbcab
	s_movk_i32 s7, 0x39e0
	s_mov_b32 s16, 0xb9e0
	s_mov_b32 s17, 0xb574
	s_movk_i32 s14, 0x3574
	s_mov_b32 s15, 0xb70e
	s_waitcnt vmcnt(0)
	v_mul_f16_sdwa v54, v38, v52 dst_sel:DWORD dst_unused:UNUSED_PAD src0_sel:WORD_1 src1_sel:DWORD
	v_fma_f16 v54, v38, v8, v54
	v_mul_f16_sdwa v8, v38, v8 dst_sel:DWORD dst_unused:UNUSED_PAD src0_sel:WORD_1 src1_sel:DWORD
	v_fma_f16 v8, v38, v52, -v8
	v_mul_f16_sdwa v38, v39, v51 dst_sel:DWORD dst_unused:UNUSED_PAD src0_sel:WORD_1 src1_sel:DWORD
	v_fma_f16 v52, v39, v12, v38
	v_mul_f16_sdwa v12, v39, v12 dst_sel:DWORD dst_unused:UNUSED_PAD src0_sel:WORD_1 src1_sel:DWORD
	v_mul_f16_sdwa v38, v40, v50 dst_sel:DWORD dst_unused:UNUSED_PAD src0_sel:WORD_1 src1_sel:DWORD
	v_fma_f16 v12, v39, v51, -v12
	v_fma_f16 v51, v40, v14, v38
	v_mul_f16_sdwa v14, v40, v14 dst_sel:DWORD dst_unused:UNUSED_PAD src0_sel:WORD_1 src1_sel:DWORD
	v_mul_f16_sdwa v38, v41, v19 dst_sel:DWORD dst_unused:UNUSED_PAD src0_sel:WORD_1 src1_sel:DWORD
	v_fma_f16 v14, v40, v50, -v14
	v_fma_f16 v50, v41, v18, v38
	v_mul_f16_sdwa v18, v41, v18 dst_sel:DWORD dst_unused:UNUSED_PAD src0_sel:WORD_1 src1_sel:DWORD
	v_fma_f16 v55, v41, v19, -v18
	global_load_dwordx2 v[18:19], v53, s[12:13] offset:1160
	s_waitcnt vmcnt(0)
	v_mul_f16_sdwa v38, v18, v49 dst_sel:DWORD dst_unused:UNUSED_PAD src0_sel:WORD_1 src1_sel:DWORD
	v_fma_f16 v56, v18, v16, v38
	global_load_dwordx4 v[38:41], v53, s[12:13] offset:3832
	v_mul_f16_sdwa v16, v18, v16 dst_sel:DWORD dst_unused:UNUSED_PAD src0_sel:WORD_1 src1_sel:DWORD
	v_fma_f16 v16, v18, v49, -v16
	v_mul_f16_sdwa v18, v19, v48 dst_sel:DWORD dst_unused:UNUSED_PAD src0_sel:WORD_1 src1_sel:DWORD
	v_fma_f16 v18, v19, v10, v18
	v_mul_f16_sdwa v10, v19, v10 dst_sel:DWORD dst_unused:UNUSED_PAD src0_sel:WORD_1 src1_sel:DWORD
	v_fma_f16 v19, v19, v48, -v10
	s_waitcnt vmcnt(0)
	v_mul_f16_sdwa v10, v38, v47 dst_sel:DWORD dst_unused:UNUSED_PAD src0_sel:WORD_1 src1_sel:DWORD
	v_fma_f16 v48, v38, v11, v10
	v_mul_f16_sdwa v10, v38, v11 dst_sel:DWORD dst_unused:UNUSED_PAD src0_sel:WORD_1 src1_sel:DWORD
	v_fma_f16 v38, v38, v47, -v10
	v_mul_f16_sdwa v10, v39, v46 dst_sel:DWORD dst_unused:UNUSED_PAD src0_sel:WORD_1 src1_sel:DWORD
	v_fma_f16 v47, v39, v13, v10
	v_mul_f16_sdwa v10, v39, v13 dst_sel:DWORD dst_unused:UNUSED_PAD src0_sel:WORD_1 src1_sel:DWORD
	v_fma_f16 v13, v39, v46, -v10
	v_mul_f16_sdwa v10, v42, v40 dst_sel:DWORD dst_unused:UNUSED_PAD src0_sel:DWORD src1_sel:WORD_1
	v_fma_f16 v39, v17, v40, v10
	v_mul_f16_sdwa v10, v17, v40 dst_sel:DWORD dst_unused:UNUSED_PAD src0_sel:DWORD src1_sel:WORD_1
	v_fma_f16 v17, v42, v40, -v10
	v_mul_f16_sdwa v10, v43, v41 dst_sel:DWORD dst_unused:UNUSED_PAD src0_sel:DWORD src1_sel:WORD_1
	v_fma_f16 v40, v15, v41, v10
	v_mul_f16_sdwa v10, v15, v41 dst_sel:DWORD dst_unused:UNUSED_PAD src0_sel:DWORD src1_sel:WORD_1
	v_fma_f16 v15, v43, v41, -v10
	global_load_dwordx2 v[10:11], v53, s[12:13] offset:3848
	v_add_f16_e32 v42, v8, v19
	v_sub_f16_e32 v8, v8, v19
	v_add_f16_e32 v19, v52, v56
	v_add_f16_e32 v43, v12, v16
	v_sub_f16_e32 v12, v12, v16
	v_add_f16_e32 v16, v51, v50
	v_sub_f16_e32 v46, v50, v51
	v_add_f16_e32 v50, v43, v42
	s_waitcnt vmcnt(0)
	s_barrier
	v_mul_f16_sdwa v41, v44, v10 dst_sel:DWORD dst_unused:UNUSED_PAD src0_sel:DWORD src1_sel:WORD_1
	v_fma_f16 v41, v9, v10, v41
	v_mul_f16_sdwa v9, v9, v10 dst_sel:DWORD dst_unused:UNUSED_PAD src0_sel:DWORD src1_sel:WORD_1
	v_fma_f16 v9, v44, v10, -v9
	v_mul_f16_sdwa v10, v45, v11 dst_sel:DWORD dst_unused:UNUSED_PAD src0_sel:DWORD src1_sel:WORD_1
	v_fma_f16 v10, v37, v11, v10
	v_mul_f16_sdwa v37, v37, v11 dst_sel:DWORD dst_unused:UNUSED_PAD src0_sel:DWORD src1_sel:WORD_1
	v_fma_f16 v11, v45, v11, -v37
	v_add_f16_e32 v37, v54, v18
	v_sub_f16_e32 v18, v54, v18
	v_sub_f16_e32 v44, v52, v56
	v_add_f16_e32 v45, v14, v55
	v_sub_f16_e32 v14, v55, v14
	v_add_f16_e32 v49, v19, v37
	v_sub_f16_e32 v51, v19, v37
	v_sub_f16_e32 v52, v43, v42
	;; [unrolled: 1-line block ×6, first 2 shown]
	v_add_f16_e32 v53, v46, v44
	v_add_f16_e32 v54, v14, v12
	v_sub_f16_e32 v55, v46, v44
	v_sub_f16_e32 v56, v14, v12
	v_sub_f16_e32 v44, v44, v18
	v_sub_f16_e32 v12, v12, v8
	v_add_f16_e32 v16, v16, v49
	v_add_f16_e32 v45, v45, v50
	v_sub_f16_e32 v46, v18, v46
	v_sub_f16_e32 v14, v8, v14
	v_add_f16_e32 v18, v53, v18
	v_add_f16_e32 v8, v54, v8
	;; [unrolled: 1-line block ×3, first 2 shown]
	v_add_f16_sdwa v36, v36, v45 dst_sel:DWORD dst_unused:UNUSED_PAD src0_sel:WORD_1 src1_sel:DWORD
	v_mul_f16_e32 v37, 0x3a52, v37
	v_mul_f16_e32 v42, 0x3a52, v42
	;; [unrolled: 1-line block ×8, first 2 shown]
	v_fma_f16 v16, v16, s9, v49
	v_fma_f16 v45, v45, s9, v36
	;; [unrolled: 1-line block ×4, first 2 shown]
	v_fma_f16 v50, v51, s7, -v50
	v_fma_f16 v53, v52, s7, -v53
	;; [unrolled: 1-line block ×4, first 2 shown]
	v_fma_f16 v51, v46, s17, v54
	v_fma_f16 v52, v14, s17, v55
	v_fma_f16 v44, v44, s6, -v54
	v_fma_f16 v12, v12, s6, -v55
	;; [unrolled: 1-line block ×4, first 2 shown]
	v_add_f16_e32 v19, v19, v16
	v_add_f16_e32 v43, v43, v45
	;; [unrolled: 1-line block ×6, first 2 shown]
	v_fma_f16 v42, v18, s15, v51
	v_fma_f16 v45, v8, s15, v52
	;; [unrolled: 1-line block ×6, first 2 shown]
	v_add_f16_e32 v14, v45, v19
	v_sub_f16_e32 v46, v43, v42
	v_add_f16_e32 v51, v8, v16
	v_sub_f16_e32 v52, v37, v18
	v_sub_f16_e32 v8, v16, v8
	v_add_f16_e32 v16, v18, v37
	v_sub_f16_e32 v18, v19, v45
	v_add_f16_e32 v19, v42, v43
	v_add_f16_e32 v37, v48, v10
	;; [unrolled: 1-line block ×3, first 2 shown]
	v_sub_f16_e32 v11, v38, v11
	v_add_f16_e32 v38, v47, v41
	v_add_f16_e32 v43, v13, v9
	v_sub_f16_e32 v41, v47, v41
	v_sub_f16_e32 v9, v13, v9
	v_add_f16_e32 v13, v39, v40
	v_add_f16_e32 v45, v17, v15
	v_sub_f16_e32 v39, v40, v39
	;; [unrolled: 4-line block ×3, first 2 shown]
	v_add_f16_e32 v55, v44, v53
	v_add_f16_e32 v12, v12, v50
	v_sub_f16_e32 v44, v53, v44
	v_sub_f16_e32 v10, v48, v10
	;; [unrolled: 1-line block ×8, first 2 shown]
	v_add_f16_e32 v50, v39, v41
	v_add_f16_e32 v53, v15, v9
	v_sub_f16_e32 v56, v39, v41
	v_sub_f16_e32 v57, v15, v9
	v_add_f16_e32 v13, v13, v17
	v_add_f16_e32 v17, v45, v40
	v_sub_f16_e32 v39, v10, v39
	v_sub_f16_e32 v15, v11, v15
	;; [unrolled: 1-line block ×4, first 2 shown]
	v_add_f16_e32 v10, v50, v10
	v_add_f16_e32 v11, v53, v11
	;; [unrolled: 1-line block ×3, first 2 shown]
	v_add_f16_sdwa v7, v7, v17 dst_sel:DWORD dst_unused:UNUSED_PAD src0_sel:WORD_1 src1_sel:DWORD
	v_mul_f16_e32 v37, 0x3a52, v37
	v_mul_f16_e32 v42, 0x3a52, v42
	;; [unrolled: 1-line block ×8, first 2 shown]
	v_fma_f16 v13, v13, s9, v40
	v_fma_f16 v17, v17, s9, v7
	;; [unrolled: 1-line block ×4, first 2 shown]
	v_fma_f16 v45, v47, s7, -v45
	v_fma_f16 v50, v48, s7, -v50
	;; [unrolled: 1-line block ×4, first 2 shown]
	v_fma_f16 v47, v39, s17, v53
	v_fma_f16 v48, v15, s17, v56
	v_fma_f16 v41, v41, s6, -v53
	v_fma_f16 v9, v9, s6, -v56
	;; [unrolled: 1-line block ×4, first 2 shown]
	v_add_f16_e32 v38, v38, v13
	v_add_f16_e32 v43, v43, v17
	;; [unrolled: 1-line block ×6, first 2 shown]
	v_fma_f16 v37, v10, s15, v47
	v_fma_f16 v42, v11, s15, v48
	;; [unrolled: 1-line block ×6, first 2 shown]
	v_add_f16_e32 v15, v42, v38
	v_sub_f16_e32 v39, v43, v37
	v_pack_b32_f16 v36, v49, v36
	v_pack_b32_f16 v7, v40, v7
	v_add_f16_e32 v47, v11, v13
	v_sub_f16_e32 v48, v17, v10
	ds_write2_b32 v4, v36, v7 offset1:112
	v_pack_b32_f16 v7, v15, v39
	v_sub_f16_e32 v53, v45, v9
	v_add_f16_e32 v56, v41, v50
	ds_write_b32 v22, v7 offset:1600
	v_pack_b32_f16 v7, v47, v48
	v_add_f16_e32 v9, v9, v45
	v_sub_f16_e32 v41, v50, v41
	ds_write_b32 v22, v7 offset:2752
	v_pack_b32_f16 v7, v53, v56
	v_sub_f16_e32 v11, v13, v11
	v_add_f16_e32 v10, v10, v17
	v_pack_b32_f16 v14, v14, v46
	ds_write_b32 v22, v7 offset:3904
	v_pack_b32_f16 v7, v9, v41
	v_sub_f16_e32 v13, v38, v42
	v_add_f16_e32 v17, v37, v43
	ds_write_b32 v4, v14 offset:1152
	v_pack_b32_f16 v14, v51, v52
	v_pack_b32_f16 v8, v8, v16
	ds_write_b32 v22, v7 offset:5056
	v_pack_b32_f16 v7, v11, v10
	ds_write_b32 v4, v14 offset:2304
	v_pack_b32_f16 v14, v54, v55
	v_pack_b32_f16 v12, v12, v44
	ds_write_b32 v4, v8 offset:5760
	v_pack_b32_f16 v8, v18, v19
	ds_write_b32 v22, v7 offset:6208
	;; [unrolled: 2-line block ×3, first 2 shown]
	ds_write_b32 v4, v12 offset:4608
	ds_write_b32 v4, v8 offset:6912
	ds_write_b32 v22, v7 offset:7360
	s_and_saveexec_b64 s[4:5], vcc
	s_cbranch_execz .LBB0_23
; %bb.22:
	v_subrev_u32_e32 v7, 64, v3
	v_cndmask_b32_e32 v7, v7, v20, vcc
	v_mul_i32_i24_e32 v7, 6, v7
	v_mov_b32_e32 v8, 0
	v_lshlrev_b64 v[7:8], 2, v[7:8]
	v_mov_b32_e32 v9, s13
	v_add_co_u32_e32 v11, vcc, s12, v7
	v_addc_co_u32_e32 v12, vcc, v9, v8, vcc
	global_load_dwordx4 v[7:10], v[11:12], off offset:1144
	global_load_dwordx2 v[13:14], v[11:12], off offset:1160
	s_waitcnt vmcnt(1)
	v_mul_f16_sdwa v11, v28, v7 dst_sel:DWORD dst_unused:UNUSED_PAD src0_sel:DWORD src1_sel:WORD_1
	s_waitcnt vmcnt(0)
	v_mul_f16_sdwa v12, v35, v14 dst_sel:DWORD dst_unused:UNUSED_PAD src0_sel:DWORD src1_sel:WORD_1
	v_mul_f16_sdwa v15, v31, v10 dst_sel:DWORD dst_unused:UNUSED_PAD src0_sel:DWORD src1_sel:WORD_1
	;; [unrolled: 1-line block ×11, first 2 shown]
	v_fma_f16 v11, v26, v7, v11
	v_fma_f16 v12, v34, v14, v12
	;; [unrolled: 1-line block ×6, first 2 shown]
	v_fma_f16 v14, v35, v14, -v19
	v_fma_f16 v7, v28, v7, -v20
	;; [unrolled: 1-line block ×6, first 2 shown]
	v_add_f16_e32 v22, v7, v14
	v_add_f16_e32 v25, v9, v10
	;; [unrolled: 1-line block ×3, first 2 shown]
	v_sub_f16_e32 v7, v7, v14
	v_sub_f16_e32 v9, v10, v9
	;; [unrolled: 1-line block ×6, first 2 shown]
	v_add_f16_e32 v11, v11, v12
	v_add_f16_e32 v12, v16, v15
	;; [unrolled: 1-line block ×3, first 2 shown]
	v_sub_f16_e32 v29, v7, v9
	v_sub_f16_e32 v30, v9, v8
	v_add_f16_e32 v9, v9, v8
	v_sub_f16_e32 v13, v20, v21
	v_add_f16_e32 v18, v26, v22
	v_add_f16_e32 v28, v15, v11
	;; [unrolled: 1-line block ×3, first 2 shown]
	v_sub_f16_e32 v7, v8, v7
	v_sub_f16_e32 v10, v19, v20
	v_add_f16_e32 v14, v20, v21
	v_sub_f16_e32 v16, v22, v25
	v_sub_f16_e32 v17, v25, v26
	;; [unrolled: 1-line block ×5, first 2 shown]
	v_mul_f16_e32 v13, 0x3846, v13
	v_add_f16_e32 v18, v25, v18
	v_add_f16_e32 v12, v12, v28
	v_mul_f16_e32 v25, 0x3846, v30
	v_mul_f16_e32 v8, 0xbb00, v7
	v_sub_f16_e32 v22, v26, v22
	v_sub_f16_e32 v11, v15, v11
	v_add_f16_e32 v14, v14, v19
	v_mul_f16_e32 v15, 0x3a52, v16
	v_mul_f16_e32 v16, 0x2b26, v17
	v_mul_f16_e32 v19, 0x3a52, v20
	v_mul_f16_e32 v20, 0x2b26, v27
	v_mul_f16_e32 v26, 0xbb00, v21
	v_fma_f16 v28, v10, s17, v13
	v_add_f16_e32 v24, v24, v18
	v_add_f16_e32 v23, v23, v12
	v_fma_f16 v30, v29, s17, v25
	v_fma_f16 v8, v29, s14, -v8
	v_fma_f16 v7, v7, s6, -v25
	;; [unrolled: 1-line block ×3, first 2 shown]
	v_fma_f16 v26, v14, s15, v28
	v_fma_f16 v18, v18, s9, v24
	;; [unrolled: 1-line block ×5, first 2 shown]
	v_fma_f16 v16, v22, s7, -v16
	v_fma_f16 v13, v21, s6, -v13
	v_fma_f16 v7, v9, s15, v7
	v_fma_f16 v9, v11, s7, -v20
	v_fma_f16 v27, v27, s8, v19
	v_fma_f16 v19, v11, s16, -v19
	v_add_f16_e32 v16, v16, v18
	v_fma_f16 v13, v14, s15, v13
	v_add_f16_e32 v9, v9, v12
	v_fma_f16 v17, v17, s8, v15
	v_fma_f16 v15, v22, s16, -v15
	v_add_f16_e32 v27, v27, v12
	v_add_f16_e32 v19, v19, v12
	;; [unrolled: 1-line block ×4, first 2 shown]
	v_sub_f16_e32 v7, v9, v7
	v_fma_f16 v10, v14, s15, v10
	v_add_f16_e32 v15, v15, v18
	v_sub_f16_e32 v14, v16, v13
	v_pack_b32_f16 v7, v7, v12
	v_add_f16_e32 v17, v17, v18
	v_add_f16_e32 v32, v10, v15
	v_sub_f16_e32 v29, v19, v8
	ds_write_b32 v4, v7 offset:4352
	v_pack_b32_f16 v7, v11, v14
	v_add_f16_e32 v30, v26, v17
	v_sub_f16_e32 v31, v27, v28
	v_sub_f16_e32 v9, v15, v10
	v_add_f16_e32 v8, v8, v19
	v_sub_f16_e32 v10, v17, v26
	v_add_f16_e32 v13, v28, v27
	ds_write_b32 v4, v7 offset:5504
	v_pack_b32_f16 v7, v29, v32
	v_pack_b32_f16 v15, v23, v24
	;; [unrolled: 1-line block ×4, first 2 shown]
	ds_write_b32 v4, v7 offset:6656
	v_pack_b32_f16 v7, v31, v30
	ds_write_b32 v4, v15 offset:896
	ds_write_b32 v4, v10 offset:2048
	;; [unrolled: 1-line block ×4, first 2 shown]
.LBB0_23:
	s_or_b64 exec, exec, s[4:5]
	s_waitcnt lgkmcnt(0)
	s_barrier
	s_and_saveexec_b64 s[4:5], s[0:1]
	s_cbranch_execz .LBB0_25
; %bb.24:
	v_mul_lo_u32 v4, s3, v5
	v_mul_lo_u32 v7, s2, v6
	v_mad_u64_u32 v[5:6], s[0:1], s2, v5, 0
	v_lshl_add_u32 v9, v3, 2, v0
	v_mov_b32_e32 v0, s11
	v_add3_u32 v6, v6, v7, v4
	v_lshlrev_b64 v[5:6], 2, v[5:6]
	v_mov_b32_e32 v4, 0
	v_add_co_u32_e32 v5, vcc, s10, v5
	v_addc_co_u32_e32 v6, vcc, v0, v6, vcc
	v_lshlrev_b64 v[0:1], 2, v[1:2]
	ds_read2_b32 v[7:8], v9 offset1:112
	v_add_co_u32_e32 v2, vcc, v5, v0
	v_addc_co_u32_e32 v10, vcc, v6, v1, vcc
	v_lshlrev_b64 v[0:1], 2, v[3:4]
	v_add_u32_e32 v5, 0x200, v9
	v_add_co_u32_e32 v0, vcc, v2, v0
	v_addc_co_u32_e32 v1, vcc, v10, v1, vcc
	s_waitcnt lgkmcnt(0)
	global_store_dword v[0:1], v7, off
	v_add_u32_e32 v0, 0x70, v3
	v_mov_b32_e32 v1, v4
	v_lshlrev_b64 v[0:1], 2, v[0:1]
	ds_read2_b32 v[5:6], v5 offset0:96 offset1:208
	v_add_co_u32_e32 v0, vcc, v2, v0
	v_addc_co_u32_e32 v1, vcc, v10, v1, vcc
	global_store_dword v[0:1], v8, off
	v_add_u32_e32 v0, 0xe0, v3
	v_mov_b32_e32 v1, v4
	v_lshlrev_b64 v[0:1], 2, v[0:1]
	v_add_co_u32_e32 v0, vcc, v2, v0
	v_addc_co_u32_e32 v1, vcc, v10, v1, vcc
	s_waitcnt lgkmcnt(0)
	global_store_dword v[0:1], v5, off
	v_add_u32_e32 v0, 0x150, v3
	v_mov_b32_e32 v1, v4
	v_lshlrev_b64 v[0:1], 2, v[0:1]
	v_add_u32_e32 v5, 0x600, v9
	v_add_co_u32_e32 v0, vcc, v2, v0
	v_addc_co_u32_e32 v1, vcc, v10, v1, vcc
	global_store_dword v[0:1], v6, off
	v_add_u32_e32 v0, 0x1c0, v3
	v_mov_b32_e32 v1, v4
	ds_read2_b32 v[5:6], v5 offset0:64 offset1:176
	v_lshlrev_b64 v[0:1], 2, v[0:1]
	v_add_co_u32_e32 v0, vcc, v2, v0
	v_addc_co_u32_e32 v1, vcc, v10, v1, vcc
	s_waitcnt lgkmcnt(0)
	global_store_dword v[0:1], v5, off
	v_add_u32_e32 v0, 0x230, v3
	v_mov_b32_e32 v1, v4
	v_lshlrev_b64 v[0:1], 2, v[0:1]
	v_add_u32_e32 v5, 0xa00, v9
	v_add_co_u32_e32 v0, vcc, v2, v0
	v_addc_co_u32_e32 v1, vcc, v10, v1, vcc
	global_store_dword v[0:1], v6, off
	v_add_u32_e32 v0, 0x2a0, v3
	v_mov_b32_e32 v1, v4
	ds_read2_b32 v[5:6], v5 offset0:32 offset1:144
	;; [unrolled: 15-line block ×6, first 2 shown]
	v_lshlrev_b64 v[0:1], 2, v[0:1]
	v_add_co_u32_e32 v0, vcc, v2, v0
	v_addc_co_u32_e32 v1, vcc, v10, v1, vcc
	s_waitcnt lgkmcnt(0)
	global_store_dword v[0:1], v5, off
	v_add_u32_e32 v0, 0x690, v3
	v_mov_b32_e32 v1, v4
	v_lshlrev_b64 v[0:1], 2, v[0:1]
	v_add_u32_e32 v5, 0x1c00, v9
	v_add_co_u32_e32 v0, vcc, v2, v0
	v_addc_co_u32_e32 v1, vcc, v10, v1, vcc
	global_store_dword v[0:1], v6, off
	v_add_u32_e32 v0, 0x700, v3
	v_mov_b32_e32 v1, v4
	ds_read2_b32 v[5:6], v5 offset1:112
	v_lshlrev_b64 v[0:1], 2, v[0:1]
	v_add_u32_e32 v3, 0x770, v3
	v_add_co_u32_e32 v0, vcc, v2, v0
	v_addc_co_u32_e32 v1, vcc, v10, v1, vcc
	s_waitcnt lgkmcnt(0)
	global_store_dword v[0:1], v5, off
	v_lshlrev_b64 v[0:1], 2, v[3:4]
	v_add_co_u32_e32 v0, vcc, v2, v0
	v_addc_co_u32_e32 v1, vcc, v10, v1, vcc
	global_store_dword v[0:1], v6, off
.LBB0_25:
	s_endpgm
	.section	.rodata,"a",@progbits
	.p2align	6, 0x0
	.amdhsa_kernel fft_rtc_back_len2016_factors_2_2_2_2_2_3_3_7_wgs_224_tpt_112_halfLds_half_op_CI_CI_unitstride_sbrr_C2R_dirReg
		.amdhsa_group_segment_fixed_size 0
		.amdhsa_private_segment_fixed_size 0
		.amdhsa_kernarg_size 104
		.amdhsa_user_sgpr_count 6
		.amdhsa_user_sgpr_private_segment_buffer 1
		.amdhsa_user_sgpr_dispatch_ptr 0
		.amdhsa_user_sgpr_queue_ptr 0
		.amdhsa_user_sgpr_kernarg_segment_ptr 1
		.amdhsa_user_sgpr_dispatch_id 0
		.amdhsa_user_sgpr_flat_scratch_init 0
		.amdhsa_user_sgpr_private_segment_size 0
		.amdhsa_uses_dynamic_stack 0
		.amdhsa_system_sgpr_private_segment_wavefront_offset 0
		.amdhsa_system_sgpr_workgroup_id_x 1
		.amdhsa_system_sgpr_workgroup_id_y 0
		.amdhsa_system_sgpr_workgroup_id_z 0
		.amdhsa_system_sgpr_workgroup_info 0
		.amdhsa_system_vgpr_workitem_id 0
		.amdhsa_next_free_vgpr 59
		.amdhsa_next_free_sgpr 28
		.amdhsa_reserve_vcc 1
		.amdhsa_reserve_flat_scratch 0
		.amdhsa_float_round_mode_32 0
		.amdhsa_float_round_mode_16_64 0
		.amdhsa_float_denorm_mode_32 3
		.amdhsa_float_denorm_mode_16_64 3
		.amdhsa_dx10_clamp 1
		.amdhsa_ieee_mode 1
		.amdhsa_fp16_overflow 0
		.amdhsa_exception_fp_ieee_invalid_op 0
		.amdhsa_exception_fp_denorm_src 0
		.amdhsa_exception_fp_ieee_div_zero 0
		.amdhsa_exception_fp_ieee_overflow 0
		.amdhsa_exception_fp_ieee_underflow 0
		.amdhsa_exception_fp_ieee_inexact 0
		.amdhsa_exception_int_div_zero 0
	.end_amdhsa_kernel
	.text
.Lfunc_end0:
	.size	fft_rtc_back_len2016_factors_2_2_2_2_2_3_3_7_wgs_224_tpt_112_halfLds_half_op_CI_CI_unitstride_sbrr_C2R_dirReg, .Lfunc_end0-fft_rtc_back_len2016_factors_2_2_2_2_2_3_3_7_wgs_224_tpt_112_halfLds_half_op_CI_CI_unitstride_sbrr_C2R_dirReg
                                        ; -- End function
	.section	.AMDGPU.csdata,"",@progbits
; Kernel info:
; codeLenInByte = 14140
; NumSgprs: 32
; NumVgprs: 59
; ScratchSize: 0
; MemoryBound: 0
; FloatMode: 240
; IeeeMode: 1
; LDSByteSize: 0 bytes/workgroup (compile time only)
; SGPRBlocks: 3
; VGPRBlocks: 14
; NumSGPRsForWavesPerEU: 32
; NumVGPRsForWavesPerEU: 59
; Occupancy: 4
; WaveLimiterHint : 1
; COMPUTE_PGM_RSRC2:SCRATCH_EN: 0
; COMPUTE_PGM_RSRC2:USER_SGPR: 6
; COMPUTE_PGM_RSRC2:TRAP_HANDLER: 0
; COMPUTE_PGM_RSRC2:TGID_X_EN: 1
; COMPUTE_PGM_RSRC2:TGID_Y_EN: 0
; COMPUTE_PGM_RSRC2:TGID_Z_EN: 0
; COMPUTE_PGM_RSRC2:TIDIG_COMP_CNT: 0
	.type	__hip_cuid_c8cac43f3f9b0638,@object ; @__hip_cuid_c8cac43f3f9b0638
	.section	.bss,"aw",@nobits
	.globl	__hip_cuid_c8cac43f3f9b0638
__hip_cuid_c8cac43f3f9b0638:
	.byte	0                               ; 0x0
	.size	__hip_cuid_c8cac43f3f9b0638, 1

	.ident	"AMD clang version 19.0.0git (https://github.com/RadeonOpenCompute/llvm-project roc-6.4.0 25133 c7fe45cf4b819c5991fe208aaa96edf142730f1d)"
	.section	".note.GNU-stack","",@progbits
	.addrsig
	.addrsig_sym __hip_cuid_c8cac43f3f9b0638
	.amdgpu_metadata
---
amdhsa.kernels:
  - .args:
      - .actual_access:  read_only
        .address_space:  global
        .offset:         0
        .size:           8
        .value_kind:     global_buffer
      - .offset:         8
        .size:           8
        .value_kind:     by_value
      - .actual_access:  read_only
        .address_space:  global
        .offset:         16
        .size:           8
        .value_kind:     global_buffer
      - .actual_access:  read_only
        .address_space:  global
        .offset:         24
        .size:           8
        .value_kind:     global_buffer
      - .actual_access:  read_only
        .address_space:  global
        .offset:         32
        .size:           8
        .value_kind:     global_buffer
      - .offset:         40
        .size:           8
        .value_kind:     by_value
      - .actual_access:  read_only
        .address_space:  global
        .offset:         48
        .size:           8
        .value_kind:     global_buffer
      - .actual_access:  read_only
        .address_space:  global
        .offset:         56
        .size:           8
        .value_kind:     global_buffer
      - .offset:         64
        .size:           4
        .value_kind:     by_value
      - .actual_access:  read_only
        .address_space:  global
        .offset:         72
        .size:           8
        .value_kind:     global_buffer
      - .actual_access:  read_only
        .address_space:  global
        .offset:         80
        .size:           8
        .value_kind:     global_buffer
      - .actual_access:  read_only
        .address_space:  global
        .offset:         88
        .size:           8
        .value_kind:     global_buffer
      - .actual_access:  write_only
        .address_space:  global
        .offset:         96
        .size:           8
        .value_kind:     global_buffer
    .group_segment_fixed_size: 0
    .kernarg_segment_align: 8
    .kernarg_segment_size: 104
    .language:       OpenCL C
    .language_version:
      - 2
      - 0
    .max_flat_workgroup_size: 224
    .name:           fft_rtc_back_len2016_factors_2_2_2_2_2_3_3_7_wgs_224_tpt_112_halfLds_half_op_CI_CI_unitstride_sbrr_C2R_dirReg
    .private_segment_fixed_size: 0
    .sgpr_count:     32
    .sgpr_spill_count: 0
    .symbol:         fft_rtc_back_len2016_factors_2_2_2_2_2_3_3_7_wgs_224_tpt_112_halfLds_half_op_CI_CI_unitstride_sbrr_C2R_dirReg.kd
    .uniform_work_group_size: 1
    .uses_dynamic_stack: false
    .vgpr_count:     59
    .vgpr_spill_count: 0
    .wavefront_size: 64
amdhsa.target:   amdgcn-amd-amdhsa--gfx906
amdhsa.version:
  - 1
  - 2
...

	.end_amdgpu_metadata
